;; amdgpu-corpus repo=ROCm/Tensile kind=harvested arch=n/a opt=n/a

/******************************************/
/* Function Prefix                        */
/******************************************/



/******************************************/
/* Begin Kernel                           */
/******************************************/

// Component.Signature.SignatureDefault
.amdgcn_target "amdgcn-amd-amdhsa--gfx90a"
.text
.protected Cijk_Ailk_Bjlk_HHS_BHR_MT128x192x32_MI32x32x8x1_SN_1LDSB0_AF0EM1_AF1EM1_AMAS0_ASE_ASLT_ASEM1_BL1_EPS1_GLVWA8_GLVWB8_GRVW8_GSU1_GSUASB_ISA90a_IU1_K1_KLA_LBSPPB0_LPA0_LPB0_LDL1_LRVW4_LDW0_FMA_MIAV1_MMFGLC_NTC3_NTD3_NEPBS0_NLCA1_NLCB3_PGR2_PLR1_SIA3_SS1_SU0_SUM0_SUS0_SPO0_SRVW0_SSO0_SVW1_TT2_96_TLDS0_UMLDSB0_USFGROn1_VAW1_VSn1_VW1_VWB1_WSGRA1_WSGRB1_WG64_4_1_WGM15
.globl Cijk_Ailk_Bjlk_HHS_BHR_MT128x192x32_MI32x32x8x1_SN_1LDSB0_AF0EM1_AF1EM1_AMAS0_ASE_ASLT_ASEM1_BL1_EPS1_GLVWA8_GLVWB8_GRVW8_GSU1_GSUASB_ISA90a_IU1_K1_KLA_LBSPPB0_LPA0_LPB0_LDL1_LRVW4_LDW0_FMA_MIAV1_MMFGLC_NTC3_NTD3_NEPBS0_NLCA1_NLCB3_PGR2_PLR1_SIA3_SS1_SU0_SUM0_SUS0_SPO0_SRVW0_SSO0_SVW1_TT2_96_TLDS0_UMLDSB0_USFGROn1_VAW1_VSn1_VW1_VWB1_WSGRA1_WSGRB1_WG64_4_1_WGM15
.p2align 8
.type Cijk_Ailk_Bjlk_HHS_BHR_MT128x192x32_MI32x32x8x1_SN_1LDSB0_AF0EM1_AF1EM1_AMAS0_ASE_ASLT_ASEM1_BL1_EPS1_GLVWA8_GLVWB8_GRVW8_GSU1_GSUASB_ISA90a_IU1_K1_KLA_LBSPPB0_LPA0_LPB0_LDL1_LRVW4_LDW0_FMA_MIAV1_MMFGLC_NTC3_NTD3_NEPBS0_NLCA1_NLCB3_PGR2_PLR1_SIA3_SS1_SU0_SUM0_SUS0_SPO0_SRVW0_SSO0_SVW1_TT2_96_TLDS0_UMLDSB0_USFGROn1_VAW1_VSn1_VW1_VWB1_WSGRA1_WSGRB1_WG64_4_1_WGM15,@function
.section .rodata,#alloc
.p2align 6
.amdhsa_kernel Cijk_Ailk_Bjlk_HHS_BHR_MT128x192x32_MI32x32x8x1_SN_1LDSB0_AF0EM1_AF1EM1_AMAS0_ASE_ASLT_ASEM1_BL1_EPS1_GLVWA8_GLVWB8_GRVW8_GSU1_GSUASB_ISA90a_IU1_K1_KLA_LBSPPB0_LPA0_LPB0_LDL1_LRVW4_LDW0_FMA_MIAV1_MMFGLC_NTC3_NTD3_NEPBS0_NLCA1_NLCB3_PGR2_PLR1_SIA3_SS1_SU0_SUM0_SUS0_SPO0_SRVW0_SSO0_SVW1_TT2_96_TLDS0_UMLDSB0_USFGROn1_VAW1_VSn1_VW1_VWB1_WSGRA1_WSGRB1_WG64_4_1_WGM15
  .amdhsa_user_sgpr_kernarg_segment_ptr 1
  .amdhsa_user_sgpr_kernarg_preload_offset 0
  .amdhsa_user_sgpr_kernarg_preload_length 0
  .amdhsa_user_sgpr_count 2
  .amdhsa_accum_offset 256 // accvgpr offset
  .amdhsa_next_free_vgpr 256 // vgprs
  .amdhsa_next_free_sgpr 58 // sgprs
  .amdhsa_group_segment_fixed_size 53248 // lds bytes
  .amdhsa_private_segment_fixed_size 0
  .amdhsa_system_sgpr_workgroup_id_x 1
  .amdhsa_system_sgpr_workgroup_id_y 1
  .amdhsa_system_sgpr_workgroup_id_z 1
  .amdhsa_system_vgpr_workitem_id 0
  .amdhsa_float_denorm_mode_32 3
  .amdhsa_float_denorm_mode_16_64 3
.end_amdhsa_kernel
.text

/******************************************/
/* Optimizations and Config:              */
/******************************************/
/* ThreadTile= 32 x 3 */
/* SubGroup= 4 x 64 */
/* VectorWidthA=1 */
/* VectorWidthB=1 */
/* GlobalLoadVectorWidthA=8, GlobalLoadVectorWidthB=8 */
/* DirectToLdsA=False */
/* DirectToLdsB=False */
/* UseSgprForGRO=False */
.amdgpu_metadata
---
amdhsa.version:
  - 1
  - 1
amdhsa.target: amdgcn-amd-amdhsa--gfx90a
amdhsa.kernels:
  - .name: Cijk_Ailk_Bjlk_HHS_BHR_MT128x192x32_MI32x32x8x1_SN_1LDSB0_AF0EM1_AF1EM1_AMAS0_ASE_ASLT_ASEM1_BL1_EPS1_GLVWA8_GLVWB8_GRVW8_GSU1_GSUASB_ISA90a_IU1_K1_KLA_LBSPPB0_LPA0_LPB0_LDL1_LRVW4_LDW0_FMA_MIAV1_MMFGLC_NTC3_NTD3_NEPBS0_NLCA1_NLCB3_PGR2_PLR1_SIA3_SS1_SU0_SUM0_SUS0_SPO0_SRVW0_SSO0_SVW1_TT2_96_TLDS0_UMLDSB0_USFGROn1_VAW1_VSn1_VW1_VWB1_WSGRA1_WSGRB1_WG64_4_1_WGM15
    .symbol: 'Cijk_Ailk_Bjlk_HHS_BHR_MT128x192x32_MI32x32x8x1_SN_1LDSB0_AF0EM1_AF1EM1_AMAS0_ASE_ASLT_ASEM1_BL1_EPS1_GLVWA8_GLVWB8_GRVW8_GSU1_GSUASB_ISA90a_IU1_K1_KLA_LBSPPB0_LPA0_LPB0_LDL1_LRVW4_LDW0_FMA_MIAV1_MMFGLC_NTC3_NTD3_NEPBS0_NLCA1_NLCB3_PGR2_PLR1_SIA3_SS1_SU0_SUM0_SUS0_SPO0_SRVW0_SSO0_SVW1_TT2_96_TLDS0_UMLDSB0_USFGROn1_VAW1_VSn1_VW1_VWB1_WSGRA1_WSGRB1_WG64_4_1_WGM15.kd'
    .language:                   OpenCL C
    .language_version:
      - 2
      - 0
    .args:
      - .name:            Tensor2dSizeA
        .size:            8
        .offset:          0
        .value_kind:      by_value
        .value_type:      u64
      - .name:            Tensor2dSizeB
        .size:            8
        .offset:          8
        .value_kind:      by_value
        .value_type:      u64
      - .name:            AddressD
        .size:            8
        .offset:          16
        .value_kind:      by_value
        .value_type:      u64
      - .name:            AddressC
        .size:            8
        .offset:          24
        .value_kind:      by_value
        .value_type:      u64
      - .name:            AddressA
        .size:            8
        .offset:          32
        .value_kind:      by_value
        .value_type:      u64
      - .name:            AddressB
        .size:            8
        .offset:          40
        .value_kind:      by_value
        .value_type:      u64
      - .name:            Alpha
        .size:            4
        .offset:          48
        .value_kind:      by_value
        .value_type:      u32
      - .name:            Beta
        .size:            4
        .offset:          52
        .value_kind:      by_value
        .value_type:      u32
      - .name:            StridesD
        .size:            8
        .offset:          56
        .value_kind:      by_value
        .value_type:      u64
      - .name:            StridesC
        .size:            8
        .offset:          64
        .value_kind:      by_value
        .value_type:      u64
      - .name:            StridesA
        .size:            8
        .offset:          72
        .value_kind:      by_value
        .value_type:      u64
      - .name:            StridesB
        .size:            8
        .offset:          80
        .value_kind:      by_value
        .value_type:      u64
      - .name:            SizesFree
        .size:            12
        .offset:          88
        .value_kind:      by_value
        .value_type:      u96
      - .name:            SizesSum
        .size:            4
        .offset:          100
        .value_kind:      by_value
        .value_type:      u32
      - .name:            NumWorkGroups0
        .size:            4
        .offset:          104
        .value_kind:      by_value
        .value_type:      u32
      - .name:            NumWorkGroups1
        .size:            4
        .offset:          108
        .value_kind:      by_value
        .value_type:      u32
      - .name:            NumFullBlocks
        .size:            4
        .offset:          112
        .value_kind:      by_value
        .value_type:      u32
      - .name:            WgmRemainder1
        .size:            4
        .offset:          116
        .value_kind:      by_value
        .value_type:      u32
      - .name:            MagicNumberWgmRemainder1
        .size:            4
        .offset:          120
        .value_kind:      by_value
        .value_type:      u32
    .group_segment_fixed_size:   53248
    .kernarg_segment_align:      8
    .kernarg_segment_size:       128
    .max_flat_workgroup_size:    256
    .private_segment_fixed_size: 0
    .sgpr_count:                 58
    .sgpr_spill_count:           0
    .vgpr_count:                 256
    .vgpr_spill_count:           0
    .wavefront_size:             64
...
.end_amdgpu_metadata
Cijk_Ailk_Bjlk_HHS_BHR_MT128x192x32_MI32x32x8x1_SN_1LDSB0_AF0EM1_AF1EM1_AMAS0_ASE_ASLT_ASEM1_BL1_EPS1_GLVWA8_GLVWB8_GRVW8_GSU1_GSUASB_ISA90a_IU1_K1_KLA_LBSPPB0_LPA0_LPB0_LDL1_LRVW4_LDW0_FMA_MIAV1_MMFGLC_NTC3_NTD3_NEPBS0_NLCA1_NLCB3_PGR2_PLR1_SIA3_SS1_SU0_SUM0_SUS0_SPO0_SRVW0_SSO0_SVW1_TT2_96_TLDS0_UMLDSB0_USFGROn1_VAW1_VSn1_VW1_VWB1_WSGRA1_WSGRB1_WG64_4_1_WGM15:

/******************************************/
/* Asm syntax workarounds                 */
/******************************************/
.macro _v_add_co_u32 dst:req, cc:req, src0:req, src1:req, dpp=
   v_add_co_u32 \dst, \cc, \src0, \src1 \dpp
.endm

.macro _v_add_u32 dst:req, src0:req, src1:req, dpp=
   v_add_u32 \dst, \src0, \src1 \dpp
.endm

.macro _v_add_i32 dst:req, src0:req, src1:req, dpp=
   v_add_i32 \dst, \src0, \src1 \dpp
.endm

.macro _v_addc_co_u32 dst:req, ccOut:req, src0:req, ccIn:req, src1:req, dpp=
   v_addc_co_u32 \dst, \ccOut, \src0, \ccIn, \src1 \dpp
.endm

.macro _v_sub_co_u32 dst:req, cc:req, src0:req, src1:req, dpp=
   v_sub_co_u32 \dst, \cc, \src0, \src1 \dpp
.endm

.macro _v_sub_u32 dst:req, src0:req, src1:req, dpp=
   v_sub_u32 \dst, \src0, \src1 \dpp
.endm

.macro _v_sub_i32 dst:req, src0:req, src1:req, dpp=
   v_sub_i32 \dst, \src0, \src1 \dpp
.endm

.macro _v_add_lshl_u32 dst:req, src0:req, src1:req, shiftCnt:req
    v_add_lshl_u32 \dst, \src0, \src1, \shiftCnt
.endm

.macro _v_lshl_add_u32 dst:req, src0:req, src1:req, shiftCnt:req
    v_lshl_add_u32 \dst, \src0, \src1, \shiftCnt
.endm

.macro _v_lshl_or_b32 dst:req, src0:req, shiftCnt:req, src1:req
    v_lshl_or_b32 \dst, \src0, \shiftCnt, \src1
.endm

.macro _v_dot2acc_f32_f16 dst, src0, src1
v_dot2c_f32_f16 \dst, \src0, \src1
.endm

.macro _v_cmpx_lt_i16 dst, src0, src1=
   v_cmpx_lt_i16 \dst, \src0, \src1 
.endm

.macro _v_cmpx_lt_i32 dst, src0, src1=
   v_cmpx_lt_i32 \dst, \src0, \src1 
.endm

.macro _v_cmpx_lt_i64 dst, src0, src1=
   v_cmpx_lt_i64 \dst, \src0, \src1 
.endm

.macro _v_cmpx_lt_u16 dst, src0, src1=
   v_cmpx_lt_u16 \dst, \src0, \src1 
.endm

.macro _v_cmpx_lt_u32 dst, src0, src1=
   v_cmpx_lt_u32 \dst, \src0, \src1 
.endm

.macro _v_cmpx_lt_u64 dst, src0, src1=
   v_cmpx_lt_u64 \dst, \src0, \src1 
.endm

.macro _v_cmpx_eq_i16 dst, src0, src1=
   v_cmpx_eq_i16 \dst, \src0, \src1 
.endm

.macro _v_cmpx_eq_i32 dst, src0, src1=
   v_cmpx_eq_i32 \dst, \src0, \src1 
.endm

.macro _v_cmpx_eq_i64 dst, src0, src1=
   v_cmpx_eq_i64 \dst, \src0, \src1 
.endm

.macro _v_cmpx_eq_u16 dst, src0, src1=
   v_cmpx_eq_u16 \dst, \src0, \src1 
.endm

.macro _v_cmpx_eq_u32 dst, src0, src1=
   v_cmpx_eq_u32 \dst, \src0, \src1 
.endm

.macro _v_cmpx_eq_u64 dst, src0, src1=
   v_cmpx_eq_u64 \dst, \src0, \src1 
.endm

.macro _v_cmpx_le_i16 dst, src0, src1=
   v_cmpx_le_i16 \dst, \src0, \src1 
.endm

.macro _v_cmpx_le_i32 dst, src0, src1=
   v_cmpx_le_i32 \dst, \src0, \src1 
.endm

.macro _v_cmpx_le_i64 dst, src0, src1=
   v_cmpx_le_i64 \dst, \src0, \src1 
.endm

.macro _v_cmpx_le_u16 dst, src0, src1=
   v_cmpx_le_u16 \dst, \src0, \src1 
.endm

.macro _v_cmpx_le_u32 dst, src0, src1=
   v_cmpx_le_u32 \dst, \src0, \src1 
.endm

.macro _v_cmpx_le_u64 dst, src0, src1=
   v_cmpx_le_u64 \dst, \src0, \src1 
.endm

.macro _v_cmpx_gt_i16 dst, src0, src1=
   v_cmpx_gt_i16 \dst, \src0, \src1 
.endm

.macro _v_cmpx_gt_i32 dst, src0, src1=
   v_cmpx_gt_i32 \dst, \src0, \src1 
.endm

.macro _v_cmpx_gt_i64 dst, src0, src1=
   v_cmpx_gt_i64 \dst, \src0, \src1 
.endm

.macro _v_cmpx_gt_u16 dst, src0, src1=
   v_cmpx_gt_u16 \dst, \src0, \src1 
.endm

.macro _v_cmpx_gt_u32 dst, src0, src1=
   v_cmpx_gt_u32 \dst, \src0, \src1 
.endm

.macro _v_cmpx_gt_u64 dst, src0, src1=
   v_cmpx_gt_u64 \dst, \src0, \src1 
.endm

.macro _v_cmpx_ne_i16 dst, src0, src1=
   v_cmpx_ne_i16 \dst, \src0, \src1 
.endm

.macro _v_cmpx_ne_i32 dst, src0, src1=
   v_cmpx_ne_i32 \dst, \src0, \src1 
.endm

.macro _v_cmpx_ne_i64 dst, src0, src1=
   v_cmpx_ne_i64 \dst, \src0, \src1 
.endm

.macro _v_cmpx_ne_u16 dst, src0, src1=
   v_cmpx_ne_u16 \dst, \src0, \src1 
.endm

.macro _v_cmpx_ne_u32 dst, src0, src1=
   v_cmpx_ne_u32 \dst, \src0, \src1 
.endm

.macro _v_cmpx_ne_u64 dst, src0, src1=
   v_cmpx_ne_u64 \dst, \src0, \src1 
.endm

.macro _v_cmpx_lg_i16 dst, src0, src1=
   v_cmpx_lg_i16 \dst, \src0, \src1 
.endm

.macro _v_cmpx_lg_i32 dst, src0, src1=
   v_cmpx_lg_i32 \dst, \src0, \src1 
.endm

.macro _v_cmpx_lg_i64 dst, src0, src1=
   v_cmpx_lg_i64 \dst, \src0, \src1 
.endm

.macro _v_cmpx_lg_u16 dst, src0, src1=
   v_cmpx_lg_u16 \dst, \src0, \src1 
.endm

.macro _v_cmpx_lg_u32 dst, src0, src1=
   v_cmpx_lg_u32 \dst, \src0, \src1 
.endm

.macro _v_cmpx_lg_u64 dst, src0, src1=
   v_cmpx_lg_u64 \dst, \src0, \src1 
.endm

.macro _v_cmpx_ge_i16 dst, src0, src1=
   v_cmpx_ge_i16 \dst, \src0, \src1 
.endm

.macro _v_cmpx_ge_i32 dst, src0, src1=
   v_cmpx_ge_i32 \dst, \src0, \src1 
.endm

.macro _v_cmpx_ge_i64 dst, src0, src1=
   v_cmpx_ge_i64 \dst, \src0, \src1 
.endm

.macro _v_cmpx_ge_u16 dst, src0, src1=
   v_cmpx_ge_u16 \dst, \src0, \src1 
.endm

.macro _v_cmpx_ge_u32 dst, src0, src1=
   v_cmpx_ge_u32 \dst, \src0, \src1 
.endm

.macro _v_cmpx_ge_u64 dst, src0, src1=
   v_cmpx_ge_u64 \dst, \src0, \src1 
.endm

.macro _v_cmpx_o_i16 dst, src0, src1=
   v_cmpx_o_i16 \dst, \src0, \src1 
.endm

.macro _v_cmpx_o_i32 dst, src0, src1=
   v_cmpx_o_i32 \dst, \src0, \src1 
.endm

.macro _v_cmpx_o_i64 dst, src0, src1=
   v_cmpx_o_i64 \dst, \src0, \src1 
.endm

.macro _v_cmpx_o_u16 dst, src0, src1=
   v_cmpx_o_u16 \dst, \src0, \src1 
.endm

.macro _v_cmpx_o_u32 dst, src0, src1=
   v_cmpx_o_u32 \dst, \src0, \src1 
.endm

.macro _v_cmpx_o_u64 dst, src0, src1=
   v_cmpx_o_u64 \dst, \src0, \src1 
.endm

.macro _v_cmpx_u_i16 dst, src0, src1=
   v_cmpx_u_i16 \dst, \src0, \src1 
.endm

.macro _v_cmpx_u_i32 dst, src0, src1=
   v_cmpx_u_i32 \dst, \src0, \src1 
.endm

.macro _v_cmpx_u_i64 dst, src0, src1=
   v_cmpx_u_i64 \dst, \src0, \src1 
.endm

.macro _v_cmpx_u_u16 dst, src0, src1=
   v_cmpx_u_u16 \dst, \src0, \src1 
.endm

.macro _v_cmpx_u_u32 dst, src0, src1=
   v_cmpx_u_u32 \dst, \src0, \src1 
.endm

.macro _v_cmpx_u_u64 dst, src0, src1=
   v_cmpx_u_u64 \dst, \src0, \src1 
.endm
.macro _v_mac_f32 c:req, a:req, b:req
    v_fmac_f32 \c, \a, \b
.endmacro

/* scale global load macros */
.macro _s_load_b32 dst base offset
    s_load_dword \dst \base \offset
.endm

.macro _s_load_b64 dst base offset
    s_load_dwordx2 \dst \base \offset
.endm

.macro _s_load_b128 dst base offset
    s_load_dwordx4 \dst \base \offset
.endm

.macro _s_load_b256 dst base offset
    s_load_dwordx8 \dst \base \offset
.endm

.macro _s_load_b512 dst base offset
    s_load_dwordx16 \dst \base \offset
.endm


/* ds operation macros */
.macro _ds_load_u8 dst src offset
    ds_read_u8 \dst \src \offset
.endm

.macro _ds_load_u8_d16_hi dst src offset
    ds_read_u8_d16_hi \dst \src \offset
.endm

.macro _ds_load_u16 dst src offset
    ds_read_u16 \dst \src \offset
.endm

.macro _ds_load_u16_d16_hi dst src offset
    ds_read_u16_d16_hi \dst \src \offset
.endm

.macro _ds_load_b32 dst src offset
    ds_read_b32 \dst \src \offset
.endm

.macro _ds_load_b64 dst src offset
    ds_read_b64 \dst \src \offset
.endm

.macro _ds_load_b128 dst src offset
    ds_read_b128 \dst \src \offset
.endm

.macro _ds_store_b8 dst src offset
    ds_write_b8 \dst \src \offset
.endm

.macro _ds_store_b8_d16_hi dst src offset
    ds_write_b8_d16_hi \dst \src \offset
.endm

.macro _ds_store_b16 dst src offset
    ds_write_b16 \dst \src \offset
.endm

.macro _ds_store_b16_d16_hi dst src offset
    ds_write_b16_d16_hi \dst \src \offset
.endm

.macro _ds_store_b32 dst src offset
    ds_write_b32 \dst \src \offset
.endm

.macro _ds_store_b64 dst src offset
    ds_write_b64 \dst \src \offset
.endm

.macro _ds_store_b128 dst src offset
    ds_write_b128 \dst \src \offset
.endm

.macro _ds_load2_b32 dst src offset1 offset2
    ds_read2_b32 \dst \src \offset1 \offset2
.endm

.macro _ds_load2_b64 dst src offset1 offset2
    ds_read2_b64 \dst \src \offset1 \offset2
.endm

.macro _ds_store2_b32 dst src offset1 offset2
    ds_write2_b32 \dst \src \offset1 \offset2
.endm

.macro _ds_store2_b64 dst src offset1 offset2
    ds_write2_b64 \dst \src \offset1 \offset2
.endm


/* buffer memory operation macros */
.macro _buffer_load_b32 dst voffset base soffset offen ioffset md0 md1 md2
    buffer_load_dword \dst \voffset \base \soffset \offen \ioffset \md0 \md1 \md2
.endm

.macro _buffer_load_b64 dst voffset base soffset offen ioffset md0 md1 md2
    buffer_load_dwordx2 \dst \voffset \base \soffset \offen \ioffset \md0 \md1 \md2
.endm

.macro _buffer_load_b96 dst voffset base soffset offen ioffset md0 md1 md2
    buffer_load_dwordx3 \dst \voffset \base \soffset \offen \ioffset \md0 \md1 \md2
.endm

.macro _buffer_load_b128 dst voffset base soffset offen ioffset md0 md1 md2
    buffer_load_dwordx4 \dst \voffset \base \soffset \offen \ioffset \md0 \md1 \md2
.endm

.macro _buffer_load_d16_b16 dst voffset base soffset offen ioffset md0 md1 md2
    buffer_load_short_d16 \dst \voffset \base \soffset \offen \ioffset \md0 \md1 \md2
.endm

.macro _buffer_load_d16_hi_b16 dst voffset base soffset offen ioffset md0 md1 md2
    buffer_load_short_d16_hi \dst \voffset \base \soffset \offen \ioffset \md0 \md1 \md2
.endm

.macro _buffer_load_d16_u8 dst voffset base soffset offen ioffset md0 md1 md2
    buffer_load_ubyte_d16 \dst \voffset \base \soffset \offen \ioffset \md0 \md1 \md2
.endm

.macro _buffer_load_d16_hi_u8 dst voffset base soffset offen ioffset md0 md1 md2
    buffer_load_ubyte_d16_hi \dst \voffset \base \soffset \offen \ioffset \md0 \md1 \md2
.endm

.macro _buffer_load_u16 dst voffset base soffset offen ioffset md0 md1 md2
    buffer_load_ushort \dst \voffset \base \soffset \offen \ioffset \md0 \md1 \md2
.endm

.macro _buffer_load_b32_dtl voffset base soffset offen ioffset md0 md1 md2
    buffer_load_dword \voffset \base \soffset \offen \ioffset \md0 \md1 \md2
.endm

.macro _buffer_load_b64_dtl voffset base soffset offen ioffset md0 md1 md2
    buffer_load_dwordx2 \voffset \base \soffset \offen \ioffset \md0 \md1 \md2
.endm

.macro _buffer_load_b128_dtl voffset base soffset offen ioffset md0 md1 md2
    buffer_load_dwordx4 \voffset \base \soffset \offen \ioffset \md0 \md1 \md2
.endm

.macro _buffer_load_u16_dtl voffset base soffset offen ioffset md0 md1 md2
    buffer_load_ushort \voffset \base \soffset \offen \ioffset \md0 \md1 \md2
.endm

.macro _buffer_store_b32 src voffset base soffset offen ioffset md0 md1 md2
    buffer_store_dword \src \voffset \base \soffset \offen \ioffset \md0 \md1 \md2
.endm

.macro _buffer_store_b64 src voffset base soffset offen ioffset md0 md1 md2
    buffer_store_dwordx2 \src \voffset \base \soffset \offen \ioffset \md0 \md1 \md2
.endm

.macro _buffer_store_b96 src voffset base soffset offen ioffset md0 md1 md2
    buffer_store_dwordx3 \src \voffset \base \soffset \offen \ioffset \md0 \md1 \md2
.endm

.macro _buffer_store_b128 src voffset base soffset offen ioffset md0 md1 md2
    buffer_store_dwordx4 \src \voffset \base \soffset \offen \ioffset \md0 \md1 \md2
.endm

.macro _buffer_store_b16 src voffset base soffset offen ioffset md0 md1 md2
    buffer_store_short \src \voffset \base \soffset \offen \ioffset \md0 \md1 \md2
.endm

.macro _buffer_store_d16_hi_b16 src voffset base soffset offen ioffset md0 md1 md2
    buffer_store_short_d16_hi \src \voffset \base \soffset \offen \ioffset \md0 \md1 \md2
.endm

.macro _buffer_store_b8 src voffset base soffset offen ioffset md0 md1 md2
    buffer_store_byte \src \voffset \base \soffset \offen \ioffset \md0 \md1 \md2
.endm

.macro _buffer_store_d16_hi_b8 src voffset base soffset offen ioffset md0 md1 md2
    buffer_store_byte_d16_hi \src \voffset \base \soffset \offen \ioffset \md0 \md1 \md2
.endm

.macro _buffer_atomic_cmpswap_b32 dst voffset base soffset offen ioffset md0 md1 md2
    buffer_atomic_cmpswap \dst \voffset \base \soffset \offen \ioffset \md0 \md1 \md2
.endm

.macro _buffer_atomic_cmpswap_b64 dst voffset base soffset offen ioffset md0 md1 md2
    buffer_atomic_cmpswap_x2 \dst \voffset \base \soffset \offen \ioffset \md0 \md1 \md2
.endm


/* buffer memory operation macros */
.macro _global_load_b32 dst base src ioffset md0 md1 md2
    global_load_dword \dst \base \src \ioffset \md0 \md1 \md2
.endm

.macro _global_load_b64 dst base src ioffset md0 md1 md2
    global_load_dwordx2 \dst \base \src \ioffset \md0 \md1 \md2
.endm

.macro _global_load_b96 dst base src ioffset md0 md1 md2
    global_load_dwordx3 \dst \base \src \ioffset \md0 \md1 \md2
.endm

.macro _global_load_b128 dst base src ioffset md0 md1 md2
    global_load_dwordx4 \dst \base \src \ioffset \md0 \md1 \md2
.endm

.macro _global_load_d16_b16 dst base src ioffset md0 md1 md2
    global_load_short_d16 \dst \base \src \ioffset \md0 \md1 \md2
.endm

.macro _global_load_d16_hi_b16 dst base src ioffset md0 md1 md2
    global_load_short_d16_hi \dst \base \src \ioffset \md0 \md1 \md2
.endm

.macro _global_load_d16_u8 dst base src ioffset md0 md1 md2
    global_load_ubyte_d16 \dst \base \src \ioffset \md0 \md1 \md2
.endm

.macro _global_load_d16_hi_u8 dst base src ioffset md0 md1 md2
    global_load_ubyte_d16_hi \dst \base \src \ioffset \md0 \md1 \md2
.endm

.macro _global_load_u16 dst base src ioffset md0 md1 md2
    global_load_ushort \dst \base \src \ioffset \md0 \md1 \md2
.endm

.macro _global_store_b32 base src src2 md0 md1 md2
    global_store_dword \base \src \src2 \md0 \md1 \md2
.endm

.macro _global_store_b64 base src src2 md0 md1 md2
    global_store_dwordx2 \base \src \src2 \md0 \md1 \md2
.endm

.macro _global_store_b96 base src src2 md0 md1 md2
    global_store_dwordx3 \base \src \src2 \md0 \md1 \md2
.endm

.macro _global_store_b128 base src src2 md0 md1 md2
    global_store_dwordx4 \base \src \src2 \md0 \md1 \md2
.endm

.macro _global_store_d16_b16 base src src2 md0 md1 md2
    global_store_short \base \src \src2 \md0 \md1 \md2
.endm

.macro _global_store_d16_hi_b16 base src src2 md0 md1 md2
    global_store_short_d16_hi \base \src \src2 \md0 \md1 \md2
.endm

.macro _global_store_d16_u8 base src src2 md0 md1 md2
    global_store_ubyte_d16 \base \src \src2 \md0 \md1 \md2
.endm

.macro _global_store_d16_hi_u8 base src src2 md0 md1 md2
    global_store_ubyte_d16_hi \base \src \src2 \md0 \md1 \md2
.endm

.macro _global_store_u16 base src src2 md0 md1 md2
    global_store_ushort \base \src \src2 \md0 \md1 \md2
.endm

.macro _global_atomic_cmpswap_b32 tmp base data src ioffset md
    global_atomic_cmpswap \tmp \base \data \src \ioffset \md
.endm

.macro _global_atomic_cmpswap_b64 tmp base data src ioffset md
    global_atomic_cmpswap_x2 \tmp \base \data \src \ioffset \md
.endm


/******************************************/
/* Magic div and mod functions            */
/******************************************/
.macro V_MAGIC_DIV dstIdx:req, dividend:req, magicNumber:req, magicShift:req, magicA:req
    v_mul_hi_u32 v[\dstIdx+1], \dividend, \magicNumber
    v_mul_lo_u32 v[\dstIdx+0], \dividend, \magicA
    _v_add_u32 v[\dstIdx+0], v[\dstIdx+0], v[\dstIdx+1]
    v_lshrrev_b32 v[\dstIdx+0], \magicShift, v[\dstIdx+0]
.endm

/******************************************/
/* VGPR Assignments                       */
/******************************************/
/* ValuC range: [0-96), serializedStore enabled */
.set vgprValuC, 0
/* ValuA/B   Xn=PLR buffer idx,  In=InnerUnroll idx */
.set vgprValuA_X0_I0, 96
.set vgprValuA_X1_I0, 100
.set vgprG2LA, 124
.set vgprValuB_X0_I0, 104
.set vgprValuB_X1_I0, 110
.set vgprG2LB, 132
.set vgprLocalWriteAddrA, 116
.set vgprLocalWriteAddrB, 117
.set vgprGlobalReadOffsetA, 118
.set vgprGlobalReadOffsetB, 120
.set vgprLocalReadAddrA, 144
.set vgprLocalReadAddrB, 145
.set vgprG2Lpipe0, 146
.set vgprG2Lpipe1, 147
.set vgprSerial, 148
/* Num VGPR=256 */
/* Num AccVGPR=0 */

/******************************************/
/* SGPR Assignments                       */
/******************************************/
.set sgprKernArgAddress, 0 // (2)
.set sgprWorkGroup0, 2 // (1)
.set sgprWorkGroup1, 3 // (1)
.set sgprWorkGroup2, 4 // (1)
.set sgprLoopCounterL, 5 // (1)
.set sgprOrigLoopCounter, 6 // (1)
.set sgprSrdA, 8 // (4)
.set sgprSrdB, 12 // (4)
.set sgprSrdD, 16 // (4)
.set sgprSrdC, 20 // (4)
.set sgprTensor2dSizeA, 24 // (2)
.set sgprTensor2dSizeB, 26 // (2)
.set sgprAddressD, 28 // (2)
.set sgprAddressC, 30 // (2)
.set sgprAddressA, 32 // (2)
.set sgprAddressB, 34 // (2)
.set sgprAlpha, 36 // (1)
.set sgprBeta, 37 // (1)
.set sgprStridesD, 38 // (2)
.set sgprStridesC, 40 // (2)
.set sgprStridesA, 42 // (2)
.set sgprStridesB, 44 // (2)
.set sgprSizesFree, 46 // (3)
.set sgprSizesSum, 49 // (1)
.set sgprNumWorkGroups0, 50 // (1)
.set sgprNumWorkGroups1, 51 // (1)
.set sgprNumFullBlocks, 52 // (1)
.set sgprWgmRemainder1, 53 // (1)
.set sgprMagicNumberWgmRemainder1, 54 // (1)
.set sgprShadowLimitA, 0 // (2)
.set sgprShadowLimitB, 28 // (2)
.set sgprGlobalReadIncsA, 7 // (1)
.set sgprGlobalReadIncsB, 30 // (1)
/* max SGPR=58 */

/* Size Assignments */
.set sgprSizeI, sgprSizesFree+0
.set sgprSizeJ, sgprSizesFree+1
.set sgprSizeK, sgprSizesFree+2
.set sgprSizeL, sgprSizesSum+0

/* Stride Assignments */
.set constStrideD0I, 1
.set sgprStrideD1J, sgprStridesD+0
.set sgprStrideDK, sgprStridesD+1
.set constStrideC0I, 1
.set sgprStrideC1J, sgprStridesC+0
.set sgprStrideCK, sgprStridesC+1
.set constStrideA0I, 1
.set sgprStrideAL, sgprStridesA+0
.set sgprStrideAK, sgprStridesA+1
.set constStrideB1J, 1
.set sgprStrideBL, sgprStridesB+0
.set sgprStrideBK, sgprStridesB+1

.set MT0, 128
.set MT1, 192
.set DepthU, 32
.set GSU, 1
.set BpeA, 2
.set BpeALog2, 1
.set BpeB, 2
.set BpeBLog2, 1
/* Number of elements to shift-left SRD */
.set SrdShiftLeftA, 8
.set SrdShiftLeftB, 8
/* 2GB limit - set offsets to -1 to exceed this and clamp */
.set BufferLimitA, 0xffffffff
.set BufferLimitB, 0xffffffff
.set BufferOOB, 0xfffff000

/******************************************/
/* Bits 127:96 of SRD.                    */
/* hex: 0x00020000                        */
/* dst_sel_x (3b): 0                      */
/* dst_sel_y (3b): 0                      */
/* dst_sel_z (3b): 0                      */
/* dst_sel_w (3b): 0                      */
/* num_format (3b): 0                     */
/* data_format (4b): 4                    */
/* user_vm_enable (1b): 0                 */
/* user_vm_mode (1b): 0                   */
/* index_stride (2b): 0                   */
/* add_tid_enable (1b): 0                 */
/* _unusedA (3b): 0                       */
/* nv (1b): 0                             */
/* _unusedB (2b): 0                       */
/* type (2b): 0                           */
/******************************************/
.set Srd127_96, 0x00020000

/* Global Offset A */
.macro GLOBAL_OFFSET_A vgprAddr:req vgprOffset0I:req vgprOffsetL:req vgprTmp:req
v_mul_lo_u32 v[\vgprTmp+0], s[sgprStrideAL], v[\vgprOffsetL] // mul d1 lower
_v_add_co_u32 v[\vgprAddr+0], vcc, v[\vgprOffset0I], v[\vgprTmp+0] // accumulate K lower
_v_add_u32 v[\vgprAddr+0], 0x8, v[\vgprAddr+0]     // add prepad for pointer shift
v_lshlrev_b32 v[\vgprAddr+0], 0x1, v[\vgprAddr+0]  // offset *= bytes/element
.endm

/* Global Offset B */
.macro GLOBAL_OFFSET_B vgprAddr:req vgprOffset1J:req vgprOffsetL:req vgprTmp:req
v_mul_lo_u32 v[\vgprTmp+0], s[sgprStrideBL], v[\vgprOffsetL] // mul d1 lower
_v_add_co_u32 v[\vgprAddr+0], vcc, v[\vgprOffset1J], v[\vgprTmp+0] // accumulate K lower
_v_add_u32 v[\vgprAddr+0], 0x8, v[\vgprAddr+0]     // add prepad for pointer shift
v_lshlrev_b32 v[\vgprAddr+0], 0x1, v[\vgprAddr+0]  // offset *= bytes/element
.endm

/******************************************/
/* Dynamic Scalar Divide: vQuotient=vDividend/vDivisor; vRemainder=vDividend%vDivisor; */
/******************************************/
.macro DYNAMIC_VECTOR_DIVIDE vQuotient vRemainder vDividend vDivisor vTmp0 vTmp1 sTmp
v_cvt_f32_u32 v[\vQuotient], v[\vDivisor]          // 
v_rcp_f32 v[\vQuotient], v[\vQuotient]             // 
v_mul_f32 v[\vQuotient], 0x4f800000, v[\vQuotient] // 
v_cvt_u32_f32 v[\vQuotient], v[\vQuotient]         // 
v_mul_lo_u32 v[\vRemainder], v[\vDivisor], v[\vQuotient] // 
v_mul_hi_u32 v[\vTmp0], v[\vDivisor], v[\vQuotient] // 
_v_sub_co_u32 v[\vTmp1], vcc, 0x0, v[\vRemainder]  // 
v_cmp_ne_i32 s[\sTmp:\sTmp+1], 0x0, v[\vTmp0]      // 
v_cndmask_b32 v[\vRemainder], v[\vTmp1], v[\vRemainder], s[\sTmp:\sTmp+1] // 
v_mul_hi_u32 v[\vRemainder], v[\vRemainder], v[\vQuotient] // 
_v_sub_co_u32 v[\vTmp0], vcc, v[\vQuotient], v[\vRemainder] // 
_v_add_co_u32 v[\vQuotient], vcc, v[\vQuotient], v[\vRemainder] // 
v_cndmask_b32 v[\vQuotient], v[\vQuotient], v[\vTmp0], s[\sTmp:\sTmp+1] // 
v_mul_hi_u32 v[\vQuotient], v[\vQuotient], v[\vDividend] // 
v_mul_lo_u32 v[\vRemainder], v[\vQuotient], v[\vDivisor] // 
_v_sub_co_u32 v[\vTmp0], vcc, v[\vDividend], v[\vRemainder] // 
v_cmp_ge_u32 s[\sTmp:\sTmp+1], v[\vDividend], v[\vRemainder] // 
_v_add_co_u32 v[\vRemainder], vcc, 0x1, v[\vQuotient] // 
_v_add_co_u32 v[\vTmp1], vcc, -1, v[\vQuotient]    // 
v_cmp_le_u32 vcc, v[\vDivisor], v[\vTmp0]          // 
s_and_b64 vcc, s[\sTmp:\sTmp+1], vcc               // 
v_cndmask_b32 v[\vQuotient], v[\vQuotient], v[\vRemainder], vcc // 
v_cndmask_b32 v[\vQuotient], v[\vTmp1], v[\vQuotient], s[\sTmp:\sTmp+1] // 
v_cmp_ne_i32 vcc, 0x0, v[\vDivisor]                // 
v_cndmask_b32 v[\vQuotient], -1, v[\vQuotient], vcc // final result
v_mul_lo_u32 v[\vRemainder], v[\vQuotient], v[\vDivisor] // 
_v_sub_co_u32 v[\vRemainder], vcc, v[\vDividend], v[\vRemainder] // final result
.endm



/******************************************/
/* Allocate Resources                     */
/******************************************/

Cijk_Ailk_Bjlk_HHS_BHR_MT128x192x32_MI32x32x8x1_SN_1LDSB0_AF0EM1_AF1EM1_AMAS0_ASE_ASLT_ASEM1_BL1_EPS1_GLVWA8_GLVWB8_GRVW8_GSU1_GSUASB_ISA90a_IU1_K1_KLA_LBSPPB0_LPA0_LPB0_LDL1_LRVW4_LDW0_FMA_MIAV1_MMFGLC_NTC3_NTD3_NEPBS0_NLCA1_NLCB3_PGR2_PLR1_SIA3_SS1_SU0_SUM0_SUS0_SPO0_SRVW0_SSO0_SVW1_TT2_96_TLDS0_UMLDSB0_USFGROn1_VAW1_VSn1_VW1_VWB1_WSGRA1_WSGRB1_WG64_4_1_WGM15_preloaded: // Kernel start when preloading

/* Load Kernel Args */
_s_load_b512 s[24:39], s[sgprKernArgAddress:sgprKernArgAddress+1], 0x0 // 
_s_load_b256 s[40:47], s[sgprKernArgAddress:sgprKernArgAddress+1], 0x40 // 
_s_load_b128 s[48:51], s[sgprKernArgAddress:sgprKernArgAddress+1], 0x60 // 
_s_load_b64 s[52:53], s[sgprKernArgAddress:sgprKernArgAddress+1], 0x70 // 
_s_load_b32 s54, s[sgprKernArgAddress:sgprKernArgAddress+1], 0x78 // 
s_mov_b32 m0, 0xd000                               // LDS clamp at 53248 bytes
v_mov_b32 v[vgprSerial], v0                        // thread serial id

/******************************************/
/* Local Read Addresses                   */
/******************************************/


/* local read addresses: tile assignments a/b */

/*lr0I*/
v_and_b32 v1, 63, v[vgprSerial]                    // 0. thread id in wave: wtid = tid % wavelength(64)
v_and_b32 v0, 31, v1                               // 1. N offset: nIdx = wtid % MI_N(32)
                                                   // 1. N offset: nOffset = nIdx * nStride(1) (multiplier is 1, do nothing)
                                                   // 2. block offset: bnIdx = bnIdx % num1DBlocks(1) is 0. do nothing
                                                   // 4. apply VectorWidth: bnOffset = bnOffset * vw(1) (multiplier is 1, do nothing)
v_lshrrev_b32 v1, 5, v1                            // 5. K offset: kIdx = wtid / (MIN(32) * MIBB(1))
v_lshlrev_b32 v1, 0x9, v1                          // 5. K offset: lrKOffset = kIdx * mStride(512)
_v_add_u32 v0, v1, v0                              // 6. offset in wave: lrOffset = bnOffset + lrKOffset
v_lshrrev_b32 v2, 6, v[vgprSerial]                 // 7. wave offset in N dimen: wtid = tid / dividedForWaveId(64)
v_and_b32 v1, 1, v2                                // 7. wave offset in M dimen: wtid0 = wtid / num1DWaves(2)
v_lshlrev_b32 v1, 0x5, v1                          // 7. wave offset in M dimen: wOffset = wtid0 * W0Stride(32)
_v_add_u32 v0, v1, v0                              // 8. final local read offset: flrOffset = lrOffset + WOffset
/*lr1J*/
v_and_b32 v2, 63, v[vgprSerial]                    // 0. thread id in wave: wtid = tid % wavelength(64)
v_and_b32 v1, 31, v2                               // 1. N offset: nIdx = wtid % MI_N(32)
                                                   // 1. N offset: nOffset = nIdx * nStride(1) (multiplier is 1, do nothing)
                                                   // 2. block offset: bnIdx = bnIdx % num1DBlocks(1) is 0. do nothing
                                                   // 4. apply VectorWidth: bnOffset = bnOffset * vw(1) (multiplier is 1, do nothing)
v_lshrrev_b32 v2, 5, v2                            // 5. K offset: kIdx = wtid / (MIN(32) * MIBB(1))
s_mov_b32 s7, 0x300                                // 5. K offset: lrKOffset = kIdx * mStride(768)
v_mul_lo_u32 v2, s7, v2                            // 5. K offset: lrKOffset = kIdx * mStride(768)
_v_add_u32 v1, v2, v1                              // 6. offset in wave: lrOffset = bnOffset + lrKOffset
v_lshrrev_b32 v3, 7, v[vgprSerial]                 // 7. wave offset in N dimen: wtid = tid / dividedForWaveId(128)
v_and_b32 v2, 1, v3                                // 7. wave offset in M dimen: wtid0 = wtid / num1DWaves(2)
v_lshlrev_b32 v2, 0x5, v2                          // 7. wave offset in M dimen: wOffset = wtid0 * W0Stride(32)
_v_add_u32 v1, v2, v1                              // 8. final local read offset: flrOffset = lrOffset + WOffset


/* local read addresses: final offsets a */

v_lshlrev_b32 v[vgprLocalReadAddrA], 0x1, v0       // Final Offset: offset = (lro0)*bpe


/* local read addresses: final offsets b */

v_lshlrev_b32 v[vgprLocalReadAddrB], 0x1, v1       // Final Offset: offset = (lro1)*bpe


/* local read addresses: declare addresses a */

/* N/A */


/* local read addresses: declare addresses b */

_v_add_co_u32 v[vgprLocalReadAddrB+0], vcc, 0x2000, v[vgprLocalReadAddrB+0] //  += LdsOffsetB (lower)


/* global read addresses: tile offset assignment a */

/* LVCA = 16 */
/* v0 = (local)groA-tile = serial%LVCA (note (wgA*MTA) will be added to SRD) */
/* v1 = groA-unroll = serial/LVCA */
v_and_b32 v2, 63, v[vgprSerial]                    // v2 = v[vgprSerial] % 64
v_lshrrev_b32 v1, 4, v2                            // v1 = v2 / 16
v_and_b32 v0, 15, v2                               // v0 = v2 % 16
v_readfirstlane_b32 s56, v[vgprSerial]             // WaveIdxWavefrontWidth
s_lshr_b32 s56, s56, 0x6                           // WaveId
s_mul_i32 s56, s56, 8                              // Global Read Wave: each wave loads continuous lsp(4)*nrp(2) columns
_v_add_u32 v1, s56, v1                             // Global Read Wave: add back to column index
/* gro-tile *= glvw */
v_lshlrev_b32 v0, 0x3, v0                          // v0 = v0 * 8


/* global read addresses: tile offset assignment b */

/* LVCB = 8 */
/* v2 = (local)groB-tile = serial%LVCB (note (wgB*MTB) will be added to SRD) */
/* v3 = groB-unroll = serial/LVCB */
v_and_b32 v4, 63, v[vgprSerial]                    // v4 = v[vgprSerial] % 64
v_lshrrev_b32 v3, 3, v4                            // v3 = v4 / 8
v_and_b32 v2, 7, v4                                // v2 = v4 % 8
v_readfirstlane_b32 s56, v[vgprSerial]             // WaveIdxWavefrontWidth
s_lshr_b32 s56, s56, 0x6                           // WaveId
s_mul_i32 s56, s56, 8                              // Global Read Wave: each wave loads continuous lsp(8)*nrp(1) columns
_v_add_u32 v3, s56, v3                             // Global Read Wave: add back to column index
/* gro-tile *= glvw */
v_lshlrev_b32 v2, 0x3, v2                          // v2 = v2 * 8


/******************************************/
/* Local Write Addresses                  */
/******************************************/

/* lwaTileAssignmentA = v0 */

/* lwaTileAssignmentB = v2 */

/* lwaUnrollAssignmentA = v1 */

/* lwaUnrollAssignmentB = v3 */


/* local write addresses: first offset a */

v_mul_u32_u24 v[vgprLocalWriteAddrA], 0x80, v1     // lwAL**(MTA + PAD)
_v_add_lshl_u32 v[vgprLocalWriteAddrA], v0, v[vgprLocalWriteAddrA], 0x1 // lwFOA = (lwAA + lwAL*(MT0I+PAD))*bpe


/* local write addresses: first offset b */

v_mul_u32_u24 v[vgprLocalWriteAddrB], 0xc0, v3     // lwBL**(MTB + PAD)
_v_add_lshl_u32 v[vgprLocalWriteAddrB], v2, v[vgprLocalWriteAddrB], 0x1 // lwFOB = (lwBB + lwBL*(MT1J+PAD))*bpe
_v_add_co_u32 v[vgprLocalWriteAddrB], vcc, 0x2000, v[vgprLocalWriteAddrB] // lwFOB = lwB1J + lwBL*MT1J + LDS_OFFSET_B=4096*2


	;; [unrolled: 1-line block ×7, first 2 shown]
s_waitcnt lgkmcnt(0)                               // wait for 124 bytes of kern args
s_mov_b64 s[sgprSrdC+0:sgprSrdC+0+1], s[sgprAddressC+0:sgprAddressC+0+1] // copy addressC
s_mov_b64 s[sgprSrdD+0:sgprSrdD+0+1], s[sgprAddressD+0:sgprAddressD+0+1] // copy addressD
s_sub_u32 s[sgprSrdA+0], s[sgprAddressA+0], 16     // pre-pad to make room for possible pointer shift
s_subb_u32 s[sgprSrdA+1], s[sgprAddressA+1], 0     // pre-pad to make room for possible pointer shift
s_sub_u32 s[sgprSrdB+0], s[sgprAddressB+0], 16     // pre-pad to make room for possible pointer shift
s_subb_u32 s[sgprSrdB+1], s[sgprAddressB+1], 0     // pre-pad to make room for possible pointer shift

.set AddressD, UNDEF
.set AddressC, UNDEF
.set AddressA, UNDEF
.set AddressB, UNDEF

/* Short circuit condition if Alpha == 0, then sumDims=0 */
v_cmp_eq_f32 vcc, s[sgprAlpha], 0.0                // Alpha == 0.0f ?
s_cbranch_vccz label_AlphaNonZero                  // branch if alpha != 0
s_mov_b32 s[sgprSizesSum+0], 0x0                   // Set summation dim=0 if Alpha == 0
label_AlphaNonZero:


	;; [unrolled: 1-line block ×3, first 2 shown]
/******************************************/
/* Begin setupNewTile, isPap=False           */
/******************************************/


/* global read addresses: work-group */

/* graWorkGroup mapping */
s_mov_b32 s35, 0x8888889L                          // magic number for WGM==15
s_mul_hi_u32 s33, s[sgprWorkGroup1], s35           // s_magic mul
s_mul_i32 s32, s[sgprWorkGroup1], s35              // s_magic mul
s_lshr_b64 s[32:33], s[32:33], 31                  // sMagicDiv
s_mul_i32 s33, s32, 15                             // quotient * non-magic divisor
s_sub_u32 s33, s[sgprWorkGroup1], s33              // WorkGroup1=remainder
s_mul_i32 s33, s33, s[sgprNumWorkGroups0]          // (wg1 % WGM)*nwg0
s_add_u32 s33, s33, s[sgprWorkGroup0]              // wgSerial = wg0 + (wg1 % WGM)*nwg1
s_cmp_ge_u32 s32, s[sgprNumFullBlocks]             // blockId >= numFullBlocks ?
s_cmov_b32 s35, s[sgprMagicNumberWgmRemainder1]    // 
s_cselect_b32 s34, s[sgprWgmRemainder1], 15        // 
s_mul_hi_u32 s3, s33, s35                          // s_magic mul
s_mul_i32 s2, s33, s35                             // s_magic mul
s_lshr_b64 s[2:3], s[2:3], 31                      // sMagicDiv
s_mul_i32 s[sgprWorkGroup1], s[sgprWorkGroup0], s34 // quotient * non-magic divisor
s_sub_u32 s[sgprWorkGroup1], s33, s[sgprWorkGroup1] // WorkGroup1=remainder
s_mul_i32 s32, s32, 15                             // blockId * WGM
s_add_u32 s[sgprWorkGroup1], s[sgprWorkGroup1], s32 // wg1 += blockId * WGM


/* global read addresses: unroll assignment a */

/* v1 */


/* global read addresses: unroll assignment b */

/* v3 */


/* global read addresses: other free assignments */

/* s[sgprWorkGroup2] */


/* global read addresses: tile offsets a */

v_mov_b32 v4, v0                                   // groA0I_0


/* global read addresses: tile offsets b */

v_mov_b32 v5, v2                                   // groB1J_0
_v_add_co_u32 v6, vcc, 64, v5                      // groB1J_1 += LSCB
_v_add_co_u32 v7, vcc, 64, v6                      // groB1J_2 += LSCB


/* global read addresses: unroll offsets a */

v_mov_b32 v8, v1                                   // groAL_0
_v_add_co_u32 v9, vcc, 4, v8                       // groAL_1 + LSPA


/* global read addresses: unroll offsets b */

v_mov_b32 v10, v3                                  // groBL_0


/* global read addresses: shift a */

s_mul_i32 s31, s[sgprWorkGroup0], 128              // WorkGroup[01] * MT
s_sub_u32 s31, s[sgprSizeI], s31                   // edge = Size0I - WG*MT
s_sub_u32 s31, s31, 8                              // edge -= margin(8)
v_mov_b32 v11, s31                                 // edge vgpr = Size0I- WG*MT - margin(8)
v_min_i32 v4, v11, v4                              // offset = (offset < edge) ? offset(v4) : edge(v11)


/* global read addresses: shift b */

s_mul_i32 s31, s[sgprWorkGroup1], 192              // WorkGroup[01] * MT
s_sub_u32 s31, s[sgprSizeJ], s31                   // edge = Size1J - WG*MT
s_sub_u32 s31, s31, 8                              // edge -= margin(8)
v_mov_b32 v11, s31                                 // edge vgpr = Size1J- WG*MT - margin(8)
v_min_i32 v5, v11, v5                              // offset = (offset < edge) ? offset(v5) : edge(v11)
v_min_i32 v6, v11, v6                              // offset = (offset < edge) ? offset(v6) : edge(v11)
	;; [unrolled: 1-line block ×3, first 2 shown]


/* global read addresses: final offsets a */

GLOBAL_OFFSET_A vgprGlobalReadOffsetA+0,  4,  8, 11 // gROA_0_0_0_0
GLOBAL_OFFSET_A vgprGlobalReadOffsetA+1,  4,  9, 11 // gROA_0_0_1_0


/* global read addresses: final offsets b */

GLOBAL_OFFSET_B vgprGlobalReadOffsetB+0,  5, 10, 11 // gROB_0_0_0_0
GLOBAL_OFFSET_B vgprGlobalReadOffsetB+1,  6, 10, 11 // gROB_1_0_0_0
GLOBAL_OFFSET_B vgprGlobalReadOffsetB+2,  7, 10, 11 // gROB_2_0_0_0


/* global read addresses: addresses a */

/* max read offset = size[n] * stride[n-1] */
s_mul_hi_u32 s35, s[sgprWorkGroup0], 128           // WorkGroup[01] * MT
s_mul_i32 s34, s[sgprWorkGroup0], 128              // WorkGroup[01] * MT
s_sub_u32 s[sgprShadowLimitA+0], s[sgprTensor2dSizeA], s34 // sub tileStart
s_subb_u32 s[sgprShadowLimitA+1], s[sgprTensor2dSizeA+1], s35 // sub tileStart
s_lshl_b64 s[sgprShadowLimitA:sgprShadowLimitA+1], s[sgprShadowLimitA:sgprShadowLimitA+1], 0x1 // Set limit to use bytes
s_add_u32 s[sgprShadowLimitA+0], s[sgprShadowLimitA+0], 16 // extend limit for pre-pad
s_addc_u32 s[sgprShadowLimitA+1], s[sgprShadowLimitA+1], 0 // extend limit for pre-pad
s_cmp_eq_u32 s[sgprShadowLimitA+1], 0              // are we within 2^32?
s_cselect_b32 s[sgprSrdA+2], s[sgprShadowLimitA+0], BufferLimitA // Move shadow to real if we are within 2^32
s_mul_hi_u32 s33, s[sgprStrideAK], s[sgprWorkGroup2] // Stride*WG
s_mul_i32 s32, s[sgprStrideAK], s[sgprWorkGroup2]  // Stride*WG
s_add_u32 s34, s34, s32                            // accum wg term to tilestart
s_addc_u32 s35, s35, s33                           // accum wg term to tilestart
s_lshl_b64 s[34:35], s[34:35], 0x1                 // tileStart *= BPE
s_add_u32 s[sgprSrdA+0], s[sgprSrdA+0], s34        // SRD base = Address+ tileStart0
s_addc_u32 s[sgprSrdA+1], s[sgprSrdA+1], s35       // SRD base = Address+ tileStart1
s_mov_b32 s[sgprSrdA+3], Srd127_96                 // Set bits 127_96 in SRD


/* global read addresses: addresses b */

/* max read offset = size[n] * stride[n-1] */
s_mul_hi_u32 s35, s[sgprWorkGroup1], 192           // WorkGroup[01] * MT
s_mul_i32 s34, s[sgprWorkGroup1], 192              // WorkGroup[01] * MT
s_sub_u32 s[sgprShadowLimitB+0], s[sgprTensor2dSizeB], s34 // sub tileStart
s_subb_u32 s[sgprShadowLimitB+1], s[sgprTensor2dSizeB+1], s35 // sub tileStart
s_lshl_b64 s[sgprShadowLimitB:sgprShadowLimitB+1], s[sgprShadowLimitB:sgprShadowLimitB+1], 0x1 // Set limit to use bytes
s_add_u32 s[sgprShadowLimitB+0], s[sgprShadowLimitB+0], 16 // extend limit for pre-pad
s_addc_u32 s[sgprShadowLimitB+1], s[sgprShadowLimitB+1], 0 // extend limit for pre-pad
s_cmp_eq_u32 s[sgprShadowLimitB+1], 0              // are we within 2^32?
s_cselect_b32 s[sgprSrdB+2], s[sgprShadowLimitB+0], BufferLimitB // Move shadow to real if we are within 2^32
s_mul_hi_u32 s33, s[sgprStrideBK], s[sgprWorkGroup2] // Stride*WG
s_mul_i32 s32, s[sgprStrideBK], s[sgprWorkGroup2]  // Stride*WG
s_add_u32 s34, s34, s32                            // accum wg term to tilestart
s_addc_u32 s35, s35, s33                           // accum wg term to tilestart
s_lshl_b64 s[34:35], s[34:35], 0x1                 // tileStart *= BPE
s_add_u32 s[sgprSrdB+0], s[sgprSrdB+0], s34        // SRD base = Address+ tileStart0
s_addc_u32 s[sgprSrdB+1], s[sgprSrdB+1], s35       // SRD base = Address+ tileStart1
s_mov_b32 s[sgprSrdB+3], Srd127_96                 // Set bits 127_96 in SRD


/* global read addresses: increments a */

s_mul_i32 s[sgprGlobalReadIncsA+0], DepthU*BpeA, s[sgprStrideAL] // incrA unrollIdx)


/* global read addresses: increments b */

s_mul_i32 s[sgprGlobalReadIncsB+0], DepthU*BpeB, s[sgprStrideBL] // incrB unrollIdx)

/* declare loop num iterations */


s_lshr_b32 s[sgprLoopCounterL], s[sgprSizesSum+0], 5 // s[sgprLoopCounterL] = s[sgprSizesSum+0] / 32
s_mov_b32 s[sgprOrigLoopCounter], s[sgprLoopCounterL] // copy loop counter

/* local read addresses: init pointers a */


/* localReadInitPointers */

/* local read addresses: init pointers b */


/* localReadInitPointers */


/* prefetch: global -> local */

s_cmp_eq_u32 s[sgprLoopCounterL], 0                // at last iteration?
s_cbranch_scc1 ShadowInitStart_10                  // skip to ShadowInitStart iter b/c numIter==0


_buffer_load_b128 v[vgprG2LA+0:vgprG2LA+0+3], v[vgprGlobalReadOffsetA+0], s[sgprSrdA:sgprSrdA+3], 0, offen offset:0 // G -> Reg 0_0_0_0
_buffer_load_b128 v[vgprG2LA+4:vgprG2LA+4+3], v[vgprGlobalReadOffsetA+1], s[sgprSrdA:sgprSrdA+3], 0, offen offset:0 // G -> Reg 0_0_1_0


_buffer_load_b128 v[vgprG2LB+0:vgprG2LB+0+3], v[vgprGlobalReadOffsetB+0], s[sgprSrdB:sgprSrdB+3], 0, offen offset:0 // G -> Reg 0_0_0_0
_buffer_load_b128 v[vgprG2LB+4:vgprG2LB+4+3], v[vgprGlobalReadOffsetB+1], s[sgprSrdB:sgprSrdB+3], 0, offen offset:0 // G -> Reg 1_0_0_0
_buffer_load_b128 v[vgprG2LB+8:vgprG2LB+8+3], v[vgprGlobalReadOffsetB+2], s[sgprSrdB:sgprSrdB+3], 0, offen offset:0 // G -> Reg 2_0_0_0


/* global read inc A loopL */
s_add_u32 s[sgprSrdA+0], s[sgprSrdA+0], s[sgprGlobalReadIncsA+0] // gra SRD += inc(lower)
s_addc_u32  s[sgprSrdA+1], s[sgprSrdA+1], 0        // gra SRD += inc(upper)
s_sub_u32 s[sgprShadowLimitA+0], s[sgprShadowLimitA+0], s[sgprGlobalReadIncsA+0] // limit -= inc)
s_subb_u32 s[sgprShadowLimitA+1], s[sgprShadowLimitA+1], 0 // limit -= inc)
s_cmp_eq_u32 s[sgprShadowLimitA+1], 0              // are we within 2^32?
s_cmov_b32 s[sgprSrdA+2], s[sgprShadowLimitA+0]    // Move shadow to real if we are within 2^32

/* global read inc B loopL */
s_add_u32 s[sgprSrdB+0], s[sgprSrdB+0], s[sgprGlobalReadIncsB+0] // gra SRD += inc(lower)
s_addc_u32  s[sgprSrdB+1], s[sgprSrdB+1], 0        // gra SRD += inc(upper)
s_sub_u32 s[sgprShadowLimitB+0], s[sgprShadowLimitB+0], s[sgprGlobalReadIncsB+0] // limit -= inc)
s_subb_u32 s[sgprShadowLimitB+1], s[sgprShadowLimitB+1], 0 // limit -= inc)
s_cmp_eq_u32 s[sgprShadowLimitB+1], 0              // are we within 2^32?
s_cmov_b32 s[sgprSrdB+2], s[sgprShadowLimitB+0]    // Move shadow to real if we are within 2^32


/******************************************/
/* End setupNewTile, isPap=False             */
/******************************************/

ShadowInitStart_10: // 

s_mov_b32 s[sgprSrdD+2], BufferOOB                 // 
s_mov_b32 s[sgprSrdD+3], Srd127_96                 // Set bits 127_96 in post-loop SRD

s_mov_b32 s[sgprSrdC+2], BufferOOB                 // 
s_mov_b32 s[sgprSrdC+3], Srd127_96                 // Set bits 127_96 in post-loop SRD


s_mul_i32 s34, MT1, s[sgprWorkGroup1]              // <- wg1*MT1
s_mul_hi_u32 s33, s34, s[sgprStrideC1J]            // CScale s34 by Stride
s_mul_i32 s32, s34, s[sgprStrideC1J]               // CScale s34 by Stride
s_lshl_b64 s[32:33], s[32:33], 1                   // scale by bpe
s_add_u32 s[sgprSrdC+0], s[sgprSrdC+0], s32        // add lo to SRD
s_addc_u32 s[sgprSrdC+1], s[sgprSrdC+1], s33       // add hi to SRD
s_mul_hi_u32 s33, s34, s[sgprStrideD1J]            // Scale s34 by Stride
s_mul_i32 s32, s34, s[sgprStrideD1J]               // Scale s34 by Stride
s_lshl_b64 s[32:33], s[32:33], 1                   // scale by bpe
s_add_u32 s[sgprSrdD+0], s[sgprSrdD+0], s32        // add lo to SRD
s_addc_u32 s[sgprSrdD+1], s[sgprSrdD+1], s33       // add hi to SRD

s_mul_hi_u32 s33, s[sgprWorkGroup2], s[sgprStrideCK] // CScale s[sgprWorkGroup2] by Stride
s_mul_i32 s32, s[sgprWorkGroup2], s[sgprStrideCK]  // CScale s[sgprWorkGroup2] by Stride
s_lshl_b64 s[32:33], s[32:33], 1                   // scale by bpe
s_add_u32 s[sgprSrdC+0], s[sgprSrdC+0], s32        // add lo to SRD
s_addc_u32 s[sgprSrdC+1], s[sgprSrdC+1], s33       // add hi to SRD
s_mul_hi_u32 s33, s[sgprWorkGroup2], s[sgprStrideDK] // Scale s[sgprWorkGroup2] by Stride
s_mul_i32 s32, s[sgprWorkGroup2], s[sgprStrideDK]  // Scale s[sgprWorkGroup2] by Stride
s_lshl_b64 s[32:33], s[32:33], 1                   // scale by bpe
s_add_u32 s[sgprSrdD+0], s[sgprSrdD+0], s32        // add lo to SRD
s_addc_u32 s[sgprSrdD+1], s[sgprSrdD+1], s33       // add hi to SRD


	;; [unrolled: 1-line block ×3, first 2 shown]
/* initC: remove C-tile 0-96 from pool */

/* initC: remove AB-tile 96-116 from pool */
v_mov_b32 v[vgprValuC+0], 0x0                      // initC
v_mov_b32 v[vgprValuC+1], 0x0                      // initC
	;; [unrolled: 1-line block ×10, first 2 shown]
v_mov_b32 v[vgprValuC+10], 0x0                     // initC
v_mov_b32 v[vgprValuC+11], 0x0                     // initC
	;; [unrolled: 1-line block ×86, first 2 shown]

s_cmp_eq_u32 s[sgprLoopCounterL], 0                // at last iteration?

/* after InitC, skip to end of prefetch last iter if numIter==0 */
s_cbranch_scc0 label_NoBranch_11                   // Only branch on scc1
s_getpc_B64 s[32:33]                               // addr of next instr
s_add_i32 s34, PrefetchGlobalLastIterEnd_5, 0x4    // target branch offset
s_add_u32 s32, s32, s34                            // add target branch offset
s_addc_u32 s33, s33, 0                             // add high and carry
s_setpc_b64 s[32:33]                               // branch to PrefetchGlobalLastIterEnd_5
label_NoBranch_11:

s_waitcnt vmcnt(0)                                 // lgkmcnt=-1 vmcnt=0 8wait for global read


/* local write a */
v_cvt_f32_f16 v[vgprG2Lpipe0], v[vgprG2LA+0]       // 
v_cvt_f32_f16 v[vgprG2Lpipe1], v[vgprG2LA+0], src0_sel:WORD_1 // 
v_pack_b32_f16 v[vgprG2LA+0], v[vgprG2Lpipe0], v[vgprG2Lpipe1], op_sel:[1,1,0] // 
v_cvt_f32_f16 v[vgprG2Lpipe0], v[vgprG2LA+1]       // 
v_cvt_f32_f16 v[vgprG2Lpipe1], v[vgprG2LA+1], src0_sel:WORD_1 // 
v_pack_b32_f16 v[vgprG2LA+1], v[vgprG2Lpipe0], v[vgprG2Lpipe1], op_sel:[1,1,0] // 
	;; [unrolled: 3-line block ×4, first 2 shown]
_ds_store_b128 v[vgprLocalWriteAddrA], v[vgprG2LA+0:vgprG2LA+0+3] offset:0 // lwoA_0_0_0_0 = (0*LSCA) + (0*LSPA)(*MT0I+PAD) = 0
v_cvt_f32_f16 v[vgprG2Lpipe0], v[vgprG2LA+4]       // 
v_cvt_f32_f16 v[vgprG2Lpipe1], v[vgprG2LA+4], src0_sel:WORD_1 // 
v_pack_b32_f16 v[vgprG2LA+4], v[vgprG2Lpipe0], v[vgprG2Lpipe1], op_sel:[1,1,0] // 
v_cvt_f32_f16 v[vgprG2Lpipe0], v[vgprG2LA+5]       // 
v_cvt_f32_f16 v[vgprG2Lpipe1], v[vgprG2LA+5], src0_sel:WORD_1 // 
v_pack_b32_f16 v[vgprG2LA+5], v[vgprG2Lpipe0], v[vgprG2Lpipe1], op_sel:[1,1,0] // 
	;; [unrolled: 3-line block ×4, first 2 shown]
_ds_store_b128 v[vgprLocalWriteAddrA], v[vgprG2LA+4:vgprG2LA+4+3] offset:1024 // lwoA_0_0_1_0 = (0*LSCA) + (1*LSPA)(*MT0I+PAD) = 1024

/* local write b */
v_cvt_f32_f16 v[vgprG2Lpipe0], v[vgprG2LB+0]       // 
v_cvt_f32_f16 v[vgprG2Lpipe1], v[vgprG2LB+0], src0_sel:WORD_1 // 
v_pack_b32_f16 v[vgprG2LB+0], v[vgprG2Lpipe0], v[vgprG2Lpipe1], op_sel:[1,1,0] // 
v_cvt_f32_f16 v[vgprG2Lpipe0], v[vgprG2LB+1]       // 
v_cvt_f32_f16 v[vgprG2Lpipe1], v[vgprG2LB+1], src0_sel:WORD_1 // 
v_pack_b32_f16 v[vgprG2LB+1], v[vgprG2Lpipe0], v[vgprG2Lpipe1], op_sel:[1,1,0] // 
	;; [unrolled: 3-line block ×4, first 2 shown]
_ds_store_b128 v[vgprLocalWriteAddrB], v[vgprG2LB+0:vgprG2LB+0+3] offset:0 // lwoB_0_0_0_0 = (0*LSCB) + (0*LSPB)(*MT1J+PAD) = 0
v_cvt_f32_f16 v[vgprG2Lpipe0], v[vgprG2LB+4]       // 
v_cvt_f32_f16 v[vgprG2Lpipe1], v[vgprG2LB+4], src0_sel:WORD_1 // 
v_pack_b32_f16 v[vgprG2LB+4], v[vgprG2Lpipe0], v[vgprG2Lpipe1], op_sel:[1,1,0] // 
v_cvt_f32_f16 v[vgprG2Lpipe0], v[vgprG2LB+5]       // 
v_cvt_f32_f16 v[vgprG2Lpipe1], v[vgprG2LB+5], src0_sel:WORD_1 // 
v_pack_b32_f16 v[vgprG2LB+5], v[vgprG2Lpipe0], v[vgprG2Lpipe1], op_sel:[1,1,0] // 
	;; [unrolled: 3-line block ×4, first 2 shown]
_ds_store_b128 v[vgprLocalWriteAddrB], v[vgprG2LB+4:vgprG2LB+4+3] offset:128 // lwoB_1_0_0_0 = (1*LSCB) + (0*LSPB)(*MT1J+PAD) = 128
v_cvt_f32_f16 v[vgprG2Lpipe0], v[vgprG2LB+8]       // 
v_cvt_f32_f16 v[vgprG2Lpipe1], v[vgprG2LB+8], src0_sel:WORD_1 // 
v_pack_b32_f16 v[vgprG2LB+8], v[vgprG2Lpipe0], v[vgprG2Lpipe1], op_sel:[1,1,0] // 
v_cvt_f32_f16 v[vgprG2Lpipe0], v[vgprG2LB+9]       // 
v_cvt_f32_f16 v[vgprG2Lpipe1], v[vgprG2LB+9], src0_sel:WORD_1 // 
v_pack_b32_f16 v[vgprG2LB+9], v[vgprG2Lpipe0], v[vgprG2Lpipe1], op_sel:[1,1,0] // 
v_cvt_f32_f16 v[vgprG2Lpipe0], v[vgprG2LB+10]      // 
v_cvt_f32_f16 v[vgprG2Lpipe1], v[vgprG2LB+10], src0_sel:WORD_1 // 
v_pack_b32_f16 v[vgprG2LB+10], v[vgprG2Lpipe0], v[vgprG2Lpipe1], op_sel:[1,1,0] // 
v_cvt_f32_f16 v[vgprG2Lpipe0], v[vgprG2LB+11]      // 
v_cvt_f32_f16 v[vgprG2Lpipe1], v[vgprG2LB+11], src0_sel:WORD_1 // 
v_pack_b32_f16 v[vgprG2LB+11], v[vgprG2Lpipe0], v[vgprG2Lpipe1], op_sel:[1,1,0] // 
_ds_store_b128 v[vgprLocalWriteAddrB], v[vgprG2LB+8:vgprG2LB+8+3] offset:256 // lwoB_2_0_0_0 = (2*LSCB) + (0*LSPB)(*MT1J+PAD) = 256


/* local write swap a */


/* (EPS=1) local write swap internal offset -> 32768 */


/* local write swap b */


/* (EPS=1) local write swap internal offset -> 32768 */


	;; [unrolled: 1-line block ×3, first 2 shown]
s_cmp_eq_u32 s[sgprLoopCounterL] 0x1               // PGR=2 but only 1 loop
s_cbranch_scc1 label_0012                          // PGR=2 but only 1 loop


_buffer_load_b128 v[vgprG2LA+0:vgprG2LA+0+3], v[vgprGlobalReadOffsetA+0], s[sgprSrdA:sgprSrdA+3], 0, offen offset:0 // G -> Reg 0_0_0_0
_buffer_load_b128 v[vgprG2LA+4:vgprG2LA+4+3], v[vgprGlobalReadOffsetA+1], s[sgprSrdA:sgprSrdA+3], 0, offen offset:0 // G -> Reg 0_0_1_0


_buffer_load_b128 v[vgprG2LB+0:vgprG2LB+0+3], v[vgprGlobalReadOffsetB+0], s[sgprSrdB:sgprSrdB+3], 0, offen offset:0 // G -> Reg 0_0_0_0
_buffer_load_b128 v[vgprG2LB+4:vgprG2LB+4+3], v[vgprGlobalReadOffsetB+1], s[sgprSrdB:sgprSrdB+3], 0, offen offset:0 // G -> Reg 1_0_0_0
_buffer_load_b128 v[vgprG2LB+8:vgprG2LB+8+3], v[vgprGlobalReadOffsetB+2], s[sgprSrdB:sgprSrdB+3], 0, offen offset:0 // G -> Reg 2_0_0_0

label_0012:                                        // 

s_waitcnt lgkmcnt(0)                               // lgkmcnt=0 vmcnt=-10prefetch wait for local write

// Skip force waitcnt0
s_barrier //


/* local read prefetch a */

_ds_load_u16 v[vgprValuA_X0_I0+0], v[vgprLocalReadAddrA] offset:0 // L -> Reg lro=0 swapByteOffset=0 ti=64 vIdx=0 rIdx=0 oIdx=0 buffer=0 iui=0
_ds_load_u16_d16_hi v149, v[vgprLocalReadAddrA] offset:256 // L -> Reg lro=0 swapByteOffset=0 ti=64 vIdx=0 rIdx=1 oIdx=0 buffer=0 iui=0
_ds_load_u16 v[vgprValuA_X0_I0+1], v[vgprLocalReadAddrA] offset:512 // L -> Reg lro=0 swapByteOffset=0 ti=64 vIdx=0 rIdx=2 oIdx=0 buffer=0 iui=0
_ds_load_u16_d16_hi v150, v[vgprLocalReadAddrA] offset:768 // L -> Reg lro=0 swapByteOffset=0 ti=64 vIdx=0 rIdx=3 oIdx=0 buffer=0 iui=0
	;; [unrolled: 2-line block ×4, first 2 shown]


/* local read prefetch b */

_ds_load_u16 v[vgprValuB_X0_I0+0], v[vgprLocalReadAddrB] offset:0 // L -> Reg lro=0 swapByteOffset=0 ti=64 vIdx=0 rIdx=0 oIdx=0 buffer=0 iui=0
_ds_load_u16_d16_hi v153, v[vgprLocalReadAddrB] offset:384 // L -> Reg lro=0 swapByteOffset=0 ti=64 vIdx=0 rIdx=1 oIdx=0 buffer=0 iui=0
_ds_load_u16 v[vgprValuB_X0_I0+1], v[vgprLocalReadAddrB] offset:768 // L -> Reg lro=0 swapByteOffset=0 ti=64 vIdx=0 rIdx=2 oIdx=0 buffer=0 iui=0
_ds_load_u16_d16_hi v154, v[vgprLocalReadAddrB] offset:1152 // L -> Reg lro=0 swapByteOffset=0 ti=64 vIdx=0 rIdx=3 oIdx=0 buffer=0 iui=0
	;; [unrolled: 2-line block ×6, first 2 shown]


/* local read inc a */

/* N/A, lro->1024 */
/* self.localReadDoCntA 1 self.localReadDoCntB 1 */


/* local read inc b */

/* N/A, lro->1536 */
/* self.localReadDoCntA 1 self.localReadDoCntB 1 */


	;; [unrolled: 1-line block ×3, first 2 shown]
/******************************************/
/* Unrolled Loop(s) - Begin               */
/******************************************/

openLoopL_13:
s_cmp_eq_u32 s[sgprLoopCounterL], 0x1              // LoopCounterL < EndCounter
s_cbranch_scc1 label_0014                          // PGR=2 but only 1 loop, toPGR1
s_cmp_le_u32 s[sgprLoopCounterL], 0x2              // LoopCounterL < EndCounter
s_cbranch_scc1 LoopEndL_evenexit_4                 // do not enter LoopL
LoopBeginL_1:


/******************************************/
/* Unrolled Loop 1/2 - Begin              */
/******************************************/

label_0015: // LoopCopy1 


/* Begin Each Unroll: Check VGPR.checkin for INT8 LW */


	;; [unrolled: 1-line block ×3, first 2 shown]
/* iter 0 */

/*  grEndMfmaIndex:2, lwStartMfmaIndex:4, lwEndMfmaIndex:18  */
/*  numMfmaForLR:4, barrierMfmaIndex:19, LocalWritePerMfma:0.295 */
/*  mfmaIndex:0  */
s_waitcnt lgkmcnt(0)                               // lgkmcnt=0 vmcnt=-1wait for prior local read local write old=0, new=0 newLW=0 newLR=0
/* pack scheduling: packAIdx:2, packBIdx:2 */
v_or_b32 v[vgprValuA_X0_I0+0], v[vgprValuA_X0_I0+0], v149 // pack two half Vgpr to one Vgpr
v_or_b32 v[vgprValuA_X0_I0+1], v[vgprValuA_X0_I0+1], v150 // pack two half Vgpr to one Vgpr
v_or_b32 v[vgprValuB_X0_I0+0], v[vgprValuB_X0_I0+0], v153 // pack two half Vgpr to one Vgpr
v_or_b32 v[vgprValuB_X0_I0+1], v[vgprValuB_X0_I0+1], v154 // pack two half Vgpr to one Vgpr
v_or_b32 v[vgprValuA_X0_I0+2], v[vgprValuA_X0_I0+2], v151 // pack two half Vgpr to one Vgpr
v_or_b32 v[vgprValuA_X0_I0+3], v[vgprValuA_X0_I0+3], v152 // pack two half Vgpr to one Vgpr
v_mfma_f32_32x32x8bf16_1k v[0+0:15+0], v[vgprValuB_X0_I0+0+0+0:vgprValuB_X0_I0+0+0+0+1], v[vgprValuA_X0_I0+0+0+0:vgprValuA_X0_I0+0+0+0+1], v[0:15]
/*  mfmaIndex:1  */
_ds_load_u16 v[vgprValuA_X1_I0+0], v[vgprLocalReadAddrA] offset:2048 // L -> Reg lro=1024 swapByteOffset=0 ti=64 vIdx=0 rIdx=0 oIdx=0 buffer=1 iui=0
_ds_load_u16_d16_hi v159, v[vgprLocalReadAddrA] offset:2304 // L -> Reg lro=1024 swapByteOffset=0 ti=64 vIdx=0 rIdx=1 oIdx=0 buffer=1 iui=0
_ds_load_u16 v[vgprValuA_X1_I0+1], v[vgprLocalReadAddrA] offset:2560 // L -> Reg lro=1024 swapByteOffset=0 ti=64 vIdx=0 rIdx=2 oIdx=0 buffer=1 iui=0
_ds_load_u16_d16_hi v160, v[vgprLocalReadAddrA] offset:2816 // L -> Reg lro=1024 swapByteOffset=0 ti=64 vIdx=0 rIdx=3 oIdx=0 buffer=1 iui=0
_ds_load_u16 v[vgprValuB_X1_I0+0], v[vgprLocalReadAddrB] offset:3072 // L -> Reg lro=1536 swapByteOffset=0 ti=64 vIdx=0 rIdx=0 oIdx=0 buffer=1 iui=0
_ds_load_u16_d16_hi v163, v[vgprLocalReadAddrB] offset:3456 // L -> Reg lro=1536 swapByteOffset=0 ti=64 vIdx=0 rIdx=1 oIdx=0 buffer=1 iui=0

/* global read inc A loopL */
s_add_u32 s[sgprSrdA+0], s[sgprSrdA+0], s[sgprGlobalReadIncsA+0] // gra SRD += inc(lower)
s_addc_u32  s[sgprSrdA+1], s[sgprSrdA+1], 0        // gra SRD += inc(upper)
s_sub_u32 s[sgprShadowLimitA+0], s[sgprShadowLimitA+0], s[sgprGlobalReadIncsA+0] // limit -= inc)
s_subb_u32 s[sgprShadowLimitA+1], s[sgprShadowLimitA+1], 0 // limit -= inc)
s_cmp_eq_u32 s[sgprShadowLimitA+1], 0              // are we within 2^32?
s_cmov_b32 s[sgprSrdA+2], s[sgprShadowLimitA+0]    // Move shadow to real if we are within 2^32

/* global read inc B loopL */
s_add_u32 s[sgprSrdB+0], s[sgprSrdB+0], s[sgprGlobalReadIncsB+0] // gra SRD += inc(lower)
/* pack scheduling: packAIdx:4, packBIdx:2 */
v_or_b32 v[vgprValuB_X0_I0+2], v[vgprValuB_X0_I0+2], v155 // pack two half Vgpr to one Vgpr
v_or_b32 v[vgprValuB_X0_I0+3], v[vgprValuB_X0_I0+3], v156 // pack two half Vgpr to one Vgpr
	;; [unrolled: 1-line block ×4, first 2 shown]
v_mfma_f32_32x32x8bf16_1k v[16+0:31+0], v[vgprValuB_X0_I0+0+0+0:vgprValuB_X0_I0+0+0+0+1], v[vgprValuA_X0_I0+2+0+0:vgprValuA_X0_I0+2+0+0+1], v[16:31]
/*  mfmaIndex:2  */
_ds_load_u16 v[vgprValuB_X1_I0+1], v[vgprLocalReadAddrB] offset:3840 // L -> Reg lro=1536 swapByteOffset=0 ti=64 vIdx=0 rIdx=2 oIdx=0 buffer=1 iui=0
_ds_load_u16_d16_hi v164, v[vgprLocalReadAddrB] offset:4224 // L -> Reg lro=1536 swapByteOffset=0 ti=64 vIdx=0 rIdx=3 oIdx=0 buffer=1 iui=0
_ds_load_u16 v[vgprValuA_X1_I0+2], v[vgprLocalReadAddrA] offset:2176 // L -> Reg lro=1024 swapByteOffset=0 ti=64 vIdx=1 rIdx=0 oIdx=0 buffer=1 iui=0
_ds_load_u16_d16_hi v161, v[vgprLocalReadAddrA] offset:2432 // L -> Reg lro=1024 swapByteOffset=0 ti=64 vIdx=1 rIdx=1 oIdx=0 buffer=1 iui=0
_ds_load_u16 v[vgprValuA_X1_I0+3], v[vgprLocalReadAddrA] offset:2688 // L -> Reg lro=1024 swapByteOffset=0 ti=64 vIdx=1 rIdx=2 oIdx=0 buffer=1 iui=0
_ds_load_u16_d16_hi v162, v[vgprLocalReadAddrA] offset:2944 // L -> Reg lro=1024 swapByteOffset=0 ti=64 vIdx=1 rIdx=3 oIdx=0 buffer=1 iui=0
s_addc_u32  s[sgprSrdB+1], s[sgprSrdB+1], 0        // gra SRD += inc(upper)
s_sub_u32 s[sgprShadowLimitB+0], s[sgprShadowLimitB+0], s[sgprGlobalReadIncsB+0] // limit -= inc)
s_subb_u32 s[sgprShadowLimitB+1], s[sgprShadowLimitB+1], 0 // limit -= inc)
s_cmp_eq_u32 s[sgprShadowLimitB+1], 0              // are we within 2^32?
s_cmov_b32 s[sgprSrdB+2], s[sgprShadowLimitB+0]    // Move shadow to real if we are within 2^32
v_mfma_f32_32x32x8bf16_1k v[48+0:63+0], v[vgprValuB_X0_I0+2+0+0:vgprValuB_X0_I0+2+0+0+1], v[vgprValuA_X0_I0+2+0+0:vgprValuA_X0_I0+2+0+0+1], v[48:63]
/*  mfmaIndex:3  */
_ds_load_u16 v[vgprValuB_X1_I0+2], v[vgprLocalReadAddrB] offset:3200 // L -> Reg lro=1536 swapByteOffset=0 ti=64 vIdx=1 rIdx=0 oIdx=0 buffer=1 iui=0
_ds_load_u16_d16_hi v165, v[vgprLocalReadAddrB] offset:3584 // L -> Reg lro=1536 swapByteOffset=0 ti=64 vIdx=1 rIdx=1 oIdx=0 buffer=1 iui=0
_ds_load_u16 v[vgprValuB_X1_I0+3], v[vgprLocalReadAddrB] offset:3968 // L -> Reg lro=1536 swapByteOffset=0 ti=64 vIdx=1 rIdx=2 oIdx=0 buffer=1 iui=0
_ds_load_u16_d16_hi v166, v[vgprLocalReadAddrB] offset:4352 // L -> Reg lro=1536 swapByteOffset=0 ti=64 vIdx=1 rIdx=3 oIdx=0 buffer=1 iui=0
	;; [unrolled: 2-line block ×3, first 2 shown]
v_mfma_f32_32x32x8bf16_1k v[32+0:47+0], v[vgprValuB_X0_I0+2+0+0:vgprValuB_X0_I0+2+0+0+1], v[vgprValuA_X0_I0+0+0+0:vgprValuA_X0_I0+0+0+0+1], v[32:47]
/*  mfmaIndex:4  */
_ds_load_u16 v[vgprValuB_X1_I0+5], v[vgprLocalReadAddrB] offset:4096 // L -> Reg lro=1536 swapByteOffset=0 ti=64 vIdx=2 rIdx=2 oIdx=0 buffer=1 iui=0
_ds_load_u16_d16_hi v168, v[vgprLocalReadAddrB] offset:4480 // L -> Reg lro=1536 swapByteOffset=0 ti=64 vIdx=2 rIdx=3 oIdx=0 buffer=1 iui=0
/* sched write - iter 0 writesPerItem=1 */
s_waitcnt vmcnt(0)                                 // lgkmcnt=-1 vmcnt=0wait for global read before writing to local
v_cvt_f32_f16 v[vgprG2Lpipe0], v[vgprG2LA+0]       // 
v_cvt_f32_f16 v[vgprG2Lpipe1], v[vgprG2LA+0], src0_sel:WORD_1 // 
v_pack_b32_f16 v[vgprG2LA+0], v[vgprG2Lpipe0], v[vgprG2Lpipe1], op_sel:[1,1,0] // 
v_cvt_f32_f16 v[vgprG2Lpipe0], v[vgprG2LA+1]       // 
v_cvt_f32_f16 v[vgprG2Lpipe1], v[vgprG2LA+1], src0_sel:WORD_1 // 
v_pack_b32_f16 v[vgprG2LA+1], v[vgprG2Lpipe0], v[vgprG2Lpipe1], op_sel:[1,1,0] // 
	;; [unrolled: 3-line block ×4, first 2 shown]
_ds_store_b128 v[vgprLocalWriteAddrA], v[vgprG2LA+0:vgprG2LA+0+3] offset:32768 // lwoA_0_0_0_0 = (0*LSCA) + (0*LSPA)(*MT0I+PAD) = 32768
v_mfma_f32_32x32x8bf16_1k v[64+0:79+0], v[vgprValuB_X0_I0+4+0+0:vgprValuB_X0_I0+4+0+0+1], v[vgprValuA_X0_I0+0+0+0:vgprValuA_X0_I0+0+0+0+1], v[64:79]
/*  mfmaIndex:5  */
/* localReadsVacancy: latencyLeft 13 */
_buffer_load_b128 v[vgprG2LA+0:vgprG2LA+0+3], v[vgprGlobalReadOffsetA+0], s[sgprSrdA:sgprSrdA+3], 0, offen offset:0 // G -> Reg 0_0_0_0
v_mfma_f32_32x32x8bf16_1k v[80+0:95+0], v[vgprValuB_X0_I0+4+0+0:vgprValuB_X0_I0+4+0+0+1], v[vgprValuA_X0_I0+2+0+0:vgprValuA_X0_I0+2+0+0+1], v[80:95]
/* numPrefetchIter=0 */
/* dataAtIterA=-1 numReadsIterA=1 skipReadsIterA=1 readsPerIterA=8 */
/* dataAtIterB=-1 numReadsIterB=1 skipReadsIterB=1 readsPerIterB=12 */


/* iter 1 */

/*  grEndMfmaIndex:2, lwStartMfmaIndex:4, lwEndMfmaIndex:18  */
/*  numMfmaForLR:4, barrierMfmaIndex:19, LocalWritePerMfma:0.295 */
/*  mfmaIndex:6  */
_ds_load_u16 v[vgprValuA_X0_I0+0], v[vgprLocalReadAddrA] offset:4096 // L -> Reg lro=2048 swapByteOffset=0 ti=64 vIdx=0 rIdx=0 oIdx=0 buffer=0 iui=0
_ds_load_u16_d16_hi v149, v[vgprLocalReadAddrA] offset:4352 // L -> Reg lro=2048 swapByteOffset=0 ti=64 vIdx=0 rIdx=1 oIdx=0 buffer=0 iui=0
_ds_load_u16 v[vgprValuA_X0_I0+1], v[vgprLocalReadAddrA] offset:4608 // L -> Reg lro=2048 swapByteOffset=0 ti=64 vIdx=0 rIdx=2 oIdx=0 buffer=0 iui=0
_ds_load_u16_d16_hi v150, v[vgprLocalReadAddrA] offset:4864 // L -> Reg lro=2048 swapByteOffset=0 ti=64 vIdx=0 rIdx=3 oIdx=0 buffer=0 iui=0
_ds_load_u16 v[vgprValuB_X0_I0+0], v[vgprLocalReadAddrB] offset:6144 // L -> Reg lro=3072 swapByteOffset=0 ti=64 vIdx=0 rIdx=0 oIdx=0 buffer=0 iui=0
_ds_load_u16_d16_hi v153, v[vgprLocalReadAddrB] offset:6528 // L -> Reg lro=3072 swapByteOffset=0 ti=64 vIdx=0 rIdx=1 oIdx=0 buffer=0 iui=0
s_waitcnt lgkmcnt(7)                               // lgkmcnt=0 vmcnt=-1wait for prior local read local write old=0, new=7 newLW=1 newLR=6
/* pack scheduling: packAIdx:2, packBIdx:2 */
v_or_b32 v[vgprValuA_X1_I0+0], v[vgprValuA_X1_I0+0], v159 // pack two half Vgpr to one Vgpr
v_or_b32 v[vgprValuA_X1_I0+1], v[vgprValuA_X1_I0+1], v160 // pack two half Vgpr to one Vgpr
v_or_b32 v[vgprValuB_X1_I0+0], v[vgprValuB_X1_I0+0], v163 // pack two half Vgpr to one Vgpr
v_or_b32 v[vgprValuB_X1_I0+1], v[vgprValuB_X1_I0+1], v164 // pack two half Vgpr to one Vgpr
v_or_b32 v[vgprValuA_X1_I0+2], v[vgprValuA_X1_I0+2], v161 // pack two half Vgpr to one Vgpr
v_or_b32 v[vgprValuA_X1_I0+3], v[vgprValuA_X1_I0+3], v162 // pack two half Vgpr to one Vgpr
v_mfma_f32_32x32x8bf16_1k v[0+0:15+0], v[vgprValuB_X1_I0+0+0+0:vgprValuB_X1_I0+0+0+0+1], v[vgprValuA_X1_I0+0+0+0:vgprValuA_X1_I0+0+0+0+1], v[0:15]
/*  mfmaIndex:7  */
_ds_load_u16 v[vgprValuB_X0_I0+1], v[vgprLocalReadAddrB] offset:6912 // L -> Reg lro=3072 swapByteOffset=0 ti=64 vIdx=0 rIdx=2 oIdx=0 buffer=0 iui=0
_ds_load_u16_d16_hi v154, v[vgprLocalReadAddrB] offset:7296 // L -> Reg lro=3072 swapByteOffset=0 ti=64 vIdx=0 rIdx=3 oIdx=0 buffer=0 iui=0
_ds_load_u16 v[vgprValuA_X0_I0+2], v[vgprLocalReadAddrA] offset:4224 // L -> Reg lro=2048 swapByteOffset=0 ti=64 vIdx=1 rIdx=0 oIdx=0 buffer=0 iui=0
_ds_load_u16_d16_hi v151, v[vgprLocalReadAddrA] offset:4480 // L -> Reg lro=2048 swapByteOffset=0 ti=64 vIdx=1 rIdx=1 oIdx=0 buffer=0 iui=0
/* sched write - iter 1 writesPerItem=1 */
s_waitcnt vmcnt(0)                                 // lgkmcnt=-1 vmcnt=0wait for global read before writing to local
v_cvt_f32_f16 v[vgprG2Lpipe0], v[vgprG2LA+4]       // 
v_cvt_f32_f16 v[vgprG2Lpipe1], v[vgprG2LA+4], src0_sel:WORD_1 // 
v_pack_b32_f16 v[vgprG2LA+4], v[vgprG2Lpipe0], v[vgprG2Lpipe1], op_sel:[1,1,0] // 
v_cvt_f32_f16 v[vgprG2Lpipe0], v[vgprG2LA+5]       // 
v_cvt_f32_f16 v[vgprG2Lpipe1], v[vgprG2LA+5], src0_sel:WORD_1 // 
v_pack_b32_f16 v[vgprG2LA+5], v[vgprG2Lpipe0], v[vgprG2Lpipe1], op_sel:[1,1,0] // 
	;; [unrolled: 3-line block ×4, first 2 shown]
_ds_store_b128 v[vgprLocalWriteAddrA], v[vgprG2LA+4:vgprG2LA+4+3] offset:33792 // lwoA_0_0_1_0 = (0*LSCA) + (1*LSPA)(*MT0I+PAD) = 33792
/* pack scheduling: packAIdx:4, packBIdx:2 */
v_or_b32 v[vgprValuB_X1_I0+2], v[vgprValuB_X1_I0+2], v165 // pack two half Vgpr to one Vgpr
v_or_b32 v[vgprValuB_X1_I0+3], v[vgprValuB_X1_I0+3], v166 // pack two half Vgpr to one Vgpr
	;; [unrolled: 1-line block ×4, first 2 shown]
v_mfma_f32_32x32x8bf16_1k v[16+0:31+0], v[vgprValuB_X1_I0+0+0+0:vgprValuB_X1_I0+0+0+0+1], v[vgprValuA_X1_I0+2+0+0:vgprValuA_X1_I0+2+0+0+1], v[16:31]
/*  mfmaIndex:8  */
_ds_load_u16 v[vgprValuA_X0_I0+3], v[vgprLocalReadAddrA] offset:4736 // L -> Reg lro=2048 swapByteOffset=0 ti=64 vIdx=1 rIdx=2 oIdx=0 buffer=0 iui=0
_ds_load_u16_d16_hi v152, v[vgprLocalReadAddrA] offset:4992 // L -> Reg lro=2048 swapByteOffset=0 ti=64 vIdx=1 rIdx=3 oIdx=0 buffer=0 iui=0
_ds_load_u16 v[vgprValuB_X0_I0+2], v[vgprLocalReadAddrB] offset:6272 // L -> Reg lro=3072 swapByteOffset=0 ti=64 vIdx=1 rIdx=0 oIdx=0 buffer=0 iui=0
_ds_load_u16_d16_hi v155, v[vgprLocalReadAddrB] offset:6656 // L -> Reg lro=3072 swapByteOffset=0 ti=64 vIdx=1 rIdx=1 oIdx=0 buffer=0 iui=0
_ds_load_u16 v[vgprValuB_X0_I0+3], v[vgprLocalReadAddrB] offset:7040 // L -> Reg lro=3072 swapByteOffset=0 ti=64 vIdx=1 rIdx=2 oIdx=0 buffer=0 iui=0
_ds_load_u16_d16_hi v156, v[vgprLocalReadAddrB] offset:7424 // L -> Reg lro=3072 swapByteOffset=0 ti=64 vIdx=1 rIdx=3 oIdx=0 buffer=0 iui=0
_buffer_load_b128 v[vgprG2LA+4:vgprG2LA+4+3], v[vgprGlobalReadOffsetA+1], s[sgprSrdA:sgprSrdA+3], 0, offen offset:0 // G -> Reg 0_0_1_0
v_mfma_f32_32x32x8bf16_1k v[48+0:63+0], v[vgprValuB_X1_I0+2+0+0:vgprValuB_X1_I0+2+0+0+1], v[vgprValuA_X1_I0+2+0+0:vgprValuA_X1_I0+2+0+0+1], v[48:63]
/*  mfmaIndex:9  */
_ds_load_u16 v[vgprValuB_X0_I0+4], v[vgprLocalReadAddrB] offset:6400 // L -> Reg lro=3072 swapByteOffset=0 ti=64 vIdx=2 rIdx=0 oIdx=0 buffer=0 iui=0
_ds_load_u16_d16_hi v157, v[vgprLocalReadAddrB] offset:6784 // L -> Reg lro=3072 swapByteOffset=0 ti=64 vIdx=2 rIdx=1 oIdx=0 buffer=0 iui=0
_ds_load_u16 v[vgprValuB_X0_I0+5], v[vgprLocalReadAddrB] offset:7168 // L -> Reg lro=3072 swapByteOffset=0 ti=64 vIdx=2 rIdx=2 oIdx=0 buffer=0 iui=0
_ds_load_u16_d16_hi v158, v[vgprLocalReadAddrB] offset:7552 // L -> Reg lro=3072 swapByteOffset=0 ti=64 vIdx=2 rIdx=3 oIdx=0 buffer=0 iui=0
/* localReadsVacancy: latencyLeft 5 */
v_mfma_f32_32x32x8bf16_1k v[32+0:47+0], v[vgprValuB_X1_I0+2+0+0:vgprValuB_X1_I0+2+0+0+1], v[vgprValuA_X1_I0+0+0+0:vgprValuA_X1_I0+0+0+0+1], v[32:47]
/*  mfmaIndex:10  */
/* localReadsVacancy: latencyLeft 3 */
/* sched write - iter 1 writesPerItem=1 */
s_waitcnt vmcnt(0)                                 // lgkmcnt=-1 vmcnt=0wait for global read before writing to local
v_cvt_f32_f16 v[vgprG2Lpipe0], v[vgprG2LB+0]       // 
v_cvt_f32_f16 v[vgprG2Lpipe1], v[vgprG2LB+0], src0_sel:WORD_1 // 
v_pack_b32_f16 v[vgprG2LB+0], v[vgprG2Lpipe0], v[vgprG2Lpipe1], op_sel:[1,1,0] // 
v_cvt_f32_f16 v[vgprG2Lpipe0], v[vgprG2LB+1]       // 
v_cvt_f32_f16 v[vgprG2Lpipe1], v[vgprG2LB+1], src0_sel:WORD_1 // 
v_pack_b32_f16 v[vgprG2LB+1], v[vgprG2Lpipe0], v[vgprG2Lpipe1], op_sel:[1,1,0] // 
	;; [unrolled: 3-line block ×4, first 2 shown]
_ds_store_b128 v[vgprLocalWriteAddrB], v[vgprG2LB+0:vgprG2LB+0+3] offset:32768 // lwoB_0_0_0_0 = (0*LSCB) + (0*LSPB)(*MT1J+PAD) = 32768
v_mfma_f32_32x32x8bf16_1k v[64+0:79+0], v[vgprValuB_X1_I0+4+0+0:vgprValuB_X1_I0+4+0+0+1], v[vgprValuA_X1_I0+0+0+0:vgprValuA_X1_I0+0+0+0+1], v[64:79]
/*  mfmaIndex:11  */
/* localReadsVacancy: latencyLeft 13 */
_buffer_load_b128 v[vgprG2LB+0:vgprG2LB+0+3], v[vgprGlobalReadOffsetB+0], s[sgprSrdB:sgprSrdB+3], 0, offen offset:0 // G -> Reg 0_0_0_0
v_mfma_f32_32x32x8bf16_1k v[80+0:95+0], v[vgprValuB_X1_I0+4+0+0:vgprValuB_X1_I0+4+0+0+1], v[vgprValuA_X1_I0+2+0+0:vgprValuA_X1_I0+2+0+0+1], v[80:95]
/* numPrefetchIter=0 */
/* dataAtIterA=0 numReadsIterA=2 skipReadsIterA=1 readsPerIterA=8 */
/* dataAtIterB=0 numReadsIterB=2 skipReadsIterB=1 readsPerIterB=12 */


/* iter 2 (reset local read pointers iteration)  (swap local read pointers iteration)  */

/*  grEndMfmaIndex:2, lwStartMfmaIndex:4, lwEndMfmaIndex:18  */
/*  numMfmaForLR:4, barrierMfmaIndex:19, LocalWritePerMfma:0.295 */
/*  mfmaIndex:12  */
_ds_load_u16 v[vgprValuA_X1_I0+0], v[vgprLocalReadAddrA] offset:6144 // L -> Reg lro=3072 swapByteOffset=0 ti=64 vIdx=0 rIdx=0 oIdx=0 buffer=1 iui=0
_ds_load_u16_d16_hi v159, v[vgprLocalReadAddrA] offset:6400 // L -> Reg lro=3072 swapByteOffset=0 ti=64 vIdx=0 rIdx=1 oIdx=0 buffer=1 iui=0
_ds_load_u16 v[vgprValuA_X1_I0+1], v[vgprLocalReadAddrA] offset:6656 // L -> Reg lro=3072 swapByteOffset=0 ti=64 vIdx=0 rIdx=2 oIdx=0 buffer=1 iui=0
_ds_load_u16_d16_hi v160, v[vgprLocalReadAddrA] offset:6912 // L -> Reg lro=3072 swapByteOffset=0 ti=64 vIdx=0 rIdx=3 oIdx=0 buffer=1 iui=0
_ds_load_u16 v[vgprValuB_X1_I0+0], v[vgprLocalReadAddrB] offset:9216 // L -> Reg lro=4608 swapByteOffset=0 ti=64 vIdx=0 rIdx=0 oIdx=0 buffer=1 iui=0
_ds_load_u16_d16_hi v163, v[vgprLocalReadAddrB] offset:9600 // L -> Reg lro=4608 swapByteOffset=0 ti=64 vIdx=0 rIdx=1 oIdx=0 buffer=1 iui=0
s_waitcnt lgkmcnt(7)                               // lgkmcnt=0 vmcnt=-1wait for prior local read local write old=0, new=7 newLW=1 newLR=6
/* pack scheduling: packAIdx:2, packBIdx:2 */
v_or_b32 v[vgprValuA_X0_I0+0], v[vgprValuA_X0_I0+0], v149 // pack two half Vgpr to one Vgpr
v_or_b32 v[vgprValuA_X0_I0+1], v[vgprValuA_X0_I0+1], v150 // pack two half Vgpr to one Vgpr
v_or_b32 v[vgprValuB_X0_I0+0], v[vgprValuB_X0_I0+0], v153 // pack two half Vgpr to one Vgpr
v_or_b32 v[vgprValuB_X0_I0+1], v[vgprValuB_X0_I0+1], v154 // pack two half Vgpr to one Vgpr
v_or_b32 v[vgprValuA_X0_I0+2], v[vgprValuA_X0_I0+2], v151 // pack two half Vgpr to one Vgpr
v_or_b32 v[vgprValuA_X0_I0+3], v[vgprValuA_X0_I0+3], v152 // pack two half Vgpr to one Vgpr
v_mfma_f32_32x32x8bf16_1k v[0+0:15+0], v[vgprValuB_X0_I0+0+0+0:vgprValuB_X0_I0+0+0+0+1], v[vgprValuA_X0_I0+0+0+0:vgprValuA_X0_I0+0+0+0+1], v[0:15]
/*  mfmaIndex:13  */
_ds_load_u16 v[vgprValuB_X1_I0+1], v[vgprLocalReadAddrB] offset:9984 // L -> Reg lro=4608 swapByteOffset=0 ti=64 vIdx=0 rIdx=2 oIdx=0 buffer=1 iui=0
_ds_load_u16_d16_hi v164, v[vgprLocalReadAddrB] offset:10368 // L -> Reg lro=4608 swapByteOffset=0 ti=64 vIdx=0 rIdx=3 oIdx=0 buffer=1 iui=0
_ds_load_u16 v[vgprValuA_X1_I0+2], v[vgprLocalReadAddrA] offset:6272 // L -> Reg lro=3072 swapByteOffset=0 ti=64 vIdx=1 rIdx=0 oIdx=0 buffer=1 iui=0
_ds_load_u16_d16_hi v161, v[vgprLocalReadAddrA] offset:6528 // L -> Reg lro=3072 swapByteOffset=0 ti=64 vIdx=1 rIdx=1 oIdx=0 buffer=1 iui=0
_ds_load_u16 v[vgprValuA_X1_I0+3], v[vgprLocalReadAddrA] offset:6784 // L -> Reg lro=3072 swapByteOffset=0 ti=64 vIdx=1 rIdx=2 oIdx=0 buffer=1 iui=0
_ds_load_u16_d16_hi v162, v[vgprLocalReadAddrA] offset:7040 // L -> Reg lro=3072 swapByteOffset=0 ti=64 vIdx=1 rIdx=3 oIdx=0 buffer=1 iui=0
/* pack scheduling: packAIdx:4, packBIdx:2 */
v_or_b32 v[vgprValuB_X0_I0+2], v[vgprValuB_X0_I0+2], v155 // pack two half Vgpr to one Vgpr
v_or_b32 v[vgprValuB_X0_I0+3], v[vgprValuB_X0_I0+3], v156 // pack two half Vgpr to one Vgpr
v_or_b32 v[vgprValuB_X0_I0+4], v[vgprValuB_X0_I0+4], v157 // pack two half Vgpr to one Vgpr
v_or_b32 v[vgprValuB_X0_I0+5], v[vgprValuB_X0_I0+5], v158 // pack two half Vgpr to one Vgpr
v_mfma_f32_32x32x8bf16_1k v[16+0:31+0], v[vgprValuB_X0_I0+0+0+0:vgprValuB_X0_I0+0+0+0+1], v[vgprValuA_X0_I0+2+0+0:vgprValuA_X0_I0+2+0+0+1], v[16:31]
/*  mfmaIndex:14  */
_ds_load_u16 v[vgprValuB_X1_I0+2], v[vgprLocalReadAddrB] offset:9344 // L -> Reg lro=4608 swapByteOffset=0 ti=64 vIdx=1 rIdx=0 oIdx=0 buffer=1 iui=0
_ds_load_u16_d16_hi v165, v[vgprLocalReadAddrB] offset:9728 // L -> Reg lro=4608 swapByteOffset=0 ti=64 vIdx=1 rIdx=1 oIdx=0 buffer=1 iui=0
_ds_load_u16 v[vgprValuB_X1_I0+3], v[vgprLocalReadAddrB] offset:10112 // L -> Reg lro=4608 swapByteOffset=0 ti=64 vIdx=1 rIdx=2 oIdx=0 buffer=1 iui=0
/* sched write - iter 2 writesPerItem=1 */
s_waitcnt vmcnt(0)                                 // lgkmcnt=-1 vmcnt=0wait for global read before writing to local
v_cvt_f32_f16 v[vgprG2Lpipe0], v[vgprG2LB+4]       // 
v_cvt_f32_f16 v[vgprG2Lpipe1], v[vgprG2LB+4], src0_sel:WORD_1 // 
v_pack_b32_f16 v[vgprG2LB+4], v[vgprG2Lpipe0], v[vgprG2Lpipe1], op_sel:[1,1,0] // 
v_cvt_f32_f16 v[vgprG2Lpipe0], v[vgprG2LB+5]       // 
v_cvt_f32_f16 v[vgprG2Lpipe1], v[vgprG2LB+5], src0_sel:WORD_1 // 
v_pack_b32_f16 v[vgprG2LB+5], v[vgprG2Lpipe0], v[vgprG2Lpipe1], op_sel:[1,1,0] // 
	;; [unrolled: 3-line block ×4, first 2 shown]
_ds_store_b128 v[vgprLocalWriteAddrB], v[vgprG2LB+4:vgprG2LB+4+3] offset:32896 // lwoB_1_0_0_0 = (1*LSCB) + (0*LSPB)(*MT1J+PAD) = 32896
v_mfma_f32_32x32x8bf16_1k v[48+0:63+0], v[vgprValuB_X0_I0+2+0+0:vgprValuB_X0_I0+2+0+0+1], v[vgprValuA_X0_I0+2+0+0:vgprValuA_X0_I0+2+0+0+1], v[48:63]
/*  mfmaIndex:15  */
_ds_load_u16_d16_hi v166, v[vgprLocalReadAddrB] offset:10496 // L -> Reg lro=4608 swapByteOffset=0 ti=64 vIdx=1 rIdx=3 oIdx=0 buffer=1 iui=0
_ds_load_u16 v[vgprValuB_X1_I0+4], v[vgprLocalReadAddrB] offset:9472 // L -> Reg lro=4608 swapByteOffset=0 ti=64 vIdx=2 rIdx=0 oIdx=0 buffer=1 iui=0
_ds_load_u16_d16_hi v167, v[vgprLocalReadAddrB] offset:9856 // L -> Reg lro=4608 swapByteOffset=0 ti=64 vIdx=2 rIdx=1 oIdx=0 buffer=1 iui=0
_ds_load_u16 v[vgprValuB_X1_I0+5], v[vgprLocalReadAddrB] offset:10240 // L -> Reg lro=4608 swapByteOffset=0 ti=64 vIdx=2 rIdx=2 oIdx=0 buffer=1 iui=0
_ds_load_u16_d16_hi v168, v[vgprLocalReadAddrB] offset:10624 // L -> Reg lro=4608 swapByteOffset=0 ti=64 vIdx=2 rIdx=3 oIdx=0 buffer=1 iui=0
/* localReadsVacancy: latencyLeft 3 */
_buffer_load_b128 v[vgprG2LB+4:vgprG2LB+4+3], v[vgprGlobalReadOffsetB+1], s[sgprSrdB:sgprSrdB+3], 0, offen offset:0 // G -> Reg 1_0_0_0
v_mfma_f32_32x32x8bf16_1k v[32+0:47+0], v[vgprValuB_X0_I0+2+0+0:vgprValuB_X0_I0+2+0+0+1], v[vgprValuA_X0_I0+0+0+0:vgprValuA_X0_I0+0+0+0+1], v[32:47]
/*  mfmaIndex:16  */
/* localReadsVacancy: latencyLeft 13 */
v_mfma_f32_32x32x8bf16_1k v[64+0:79+0], v[vgprValuB_X0_I0+4+0+0:vgprValuB_X0_I0+4+0+0+1], v[vgprValuA_X0_I0+0+0+0:vgprValuA_X0_I0+0+0+0+1], v[64:79]
/*  mfmaIndex:17  */
/* localReadsVacancy: latencyLeft 3 */
/* sched write - iter 2 writesPerItem=1 */
s_waitcnt vmcnt(0)                                 // lgkmcnt=-1 vmcnt=0wait for global read before writing to local
v_cvt_f32_f16 v[vgprG2Lpipe0], v[vgprG2LB+8]       // 
v_cvt_f32_f16 v[vgprG2Lpipe1], v[vgprG2LB+8], src0_sel:WORD_1 // 
v_pack_b32_f16 v[vgprG2LB+8], v[vgprG2Lpipe0], v[vgprG2Lpipe1], op_sel:[1,1,0] // 
v_cvt_f32_f16 v[vgprG2Lpipe0], v[vgprG2LB+9]       // 
v_cvt_f32_f16 v[vgprG2Lpipe1], v[vgprG2LB+9], src0_sel:WORD_1 // 
v_pack_b32_f16 v[vgprG2LB+9], v[vgprG2Lpipe0], v[vgprG2Lpipe1], op_sel:[1,1,0] // 
v_cvt_f32_f16 v[vgprG2Lpipe0], v[vgprG2LB+10]      // 
v_cvt_f32_f16 v[vgprG2Lpipe1], v[vgprG2LB+10], src0_sel:WORD_1 // 
v_pack_b32_f16 v[vgprG2LB+10], v[vgprG2Lpipe0], v[vgprG2Lpipe1], op_sel:[1,1,0] // 
v_cvt_f32_f16 v[vgprG2Lpipe0], v[vgprG2LB+11]      // 
v_cvt_f32_f16 v[vgprG2Lpipe1], v[vgprG2LB+11], src0_sel:WORD_1 // 
v_pack_b32_f16 v[vgprG2LB+11], v[vgprG2Lpipe0], v[vgprG2Lpipe1], op_sel:[1,1,0] // 
_ds_store_b128 v[vgprLocalWriteAddrB], v[vgprG2LB+8:vgprG2LB+8+3] offset:33024 // lwoB_2_0_0_0 = (2*LSCB) + (0*LSPB)(*MT1J+PAD) = 33024

/* local read swap offsets a */

/* local read swap internal offset -> 32768 */

/* local read swap offsets b */

/* local read swap internal offset -> 32768 */

/* local read init pointers a */

/* localReadInitPointers */

/* local read init pointers b */

/* localReadInitPointers */
v_mfma_f32_32x32x8bf16_1k v[80+0:95+0], v[vgprValuB_X0_I0+4+0+0:vgprValuB_X0_I0+4+0+0+1], v[vgprValuA_X0_I0+2+0+0:vgprValuA_X0_I0+2+0+0+1], v[80:95]
/* numPrefetchIter=0 */
/* dataAtIterA=1 numReadsIterA=3 skipReadsIterA=1 readsPerIterA=8 */
/* dataAtIterB=1 numReadsIterB=3 skipReadsIterB=1 readsPerIterB=12 */


/* iter 3 (swap and reset local write pointers iteration)  */

/*  grEndMfmaIndex:2, lwStartMfmaIndex:4, lwEndMfmaIndex:18  */
/*  numMfmaForLR:4, barrierMfmaIndex:19, LocalWritePerMfma:0.295 */
/*  mfmaIndex:18  */
_buffer_load_b128 v[vgprG2LB+8:vgprG2LB+8+3], v[vgprGlobalReadOffsetB+2], s[sgprSrdB:sgprSrdB+3], 0, offen offset:0 // G -> Reg 2_0_0_0

/* local write swap offsets a */

/* (EPS=1) local write swap internal offset -> 0 */

/* local write swap offsets b */

/* (EPS=1) local write swap internal offset -> 0 */
s_waitcnt lgkmcnt(1)                               // lgkmcnt=0 vmcnt=-1wait for prior local read local write old=0, new=1 newLW=1 newLR=0
/* pack scheduling: packAIdx:2, packBIdx:2 */
v_or_b32 v[vgprValuA_X1_I0+0], v[vgprValuA_X1_I0+0], v159 // pack two half Vgpr to one Vgpr
v_or_b32 v[vgprValuA_X1_I0+1], v[vgprValuA_X1_I0+1], v160 // pack two half Vgpr to one Vgpr
v_or_b32 v[vgprValuB_X1_I0+0], v[vgprValuB_X1_I0+0], v163 // pack two half Vgpr to one Vgpr
v_or_b32 v[vgprValuB_X1_I0+1], v[vgprValuB_X1_I0+1], v164 // pack two half Vgpr to one Vgpr
v_or_b32 v[vgprValuA_X1_I0+2], v[vgprValuA_X1_I0+2], v161 // pack two half Vgpr to one Vgpr
v_or_b32 v[vgprValuA_X1_I0+3], v[vgprValuA_X1_I0+3], v162 // pack two half Vgpr to one Vgpr
v_mfma_f32_32x32x8bf16_1k v[0+0:15+0], v[vgprValuB_X1_I0+0+0+0:vgprValuB_X1_I0+0+0+0+1], v[vgprValuA_X1_I0+0+0+0:vgprValuA_X1_I0+0+0+0+1], v[0:15]
/*  mfmaIndex:19  */
s_waitcnt lgkmcnt(0)                               // lgkmcnt=0 vmcnt=-13wait for local write
// Skip force waitcnt0
s_barrier //
/* pack scheduling: packAIdx:4, packBIdx:2 */
v_or_b32 v[vgprValuB_X1_I0+2], v[vgprValuB_X1_I0+2], v165 // pack two half Vgpr to one Vgpr
v_or_b32 v[vgprValuB_X1_I0+3], v[vgprValuB_X1_I0+3], v166 // pack two half Vgpr to one Vgpr
	;; [unrolled: 1-line block ×4, first 2 shown]
v_mfma_f32_32x32x8bf16_1k v[16+0:31+0], v[vgprValuB_X1_I0+0+0+0:vgprValuB_X1_I0+0+0+0+1], v[vgprValuA_X1_I0+2+0+0:vgprValuA_X1_I0+2+0+0+1], v[16:31]
/*  mfmaIndex:20  */
_ds_load_u16 v[vgprValuA_X0_I0+0], v[vgprLocalReadAddrA] offset:32768 // L -> Reg lro=0 swapByteOffset=32768 ti=64 vIdx=0 rIdx=0 oIdx=0 buffer=0 iui=0
_ds_load_u16_d16_hi v149, v[vgprLocalReadAddrA] offset:33024 // L -> Reg lro=0 swapByteOffset=32768 ti=64 vIdx=0 rIdx=1 oIdx=0 buffer=0 iui=0
_ds_load_u16 v[vgprValuA_X0_I0+1], v[vgprLocalReadAddrA] offset:33280 // L -> Reg lro=0 swapByteOffset=32768 ti=64 vIdx=0 rIdx=2 oIdx=0 buffer=0 iui=0
_ds_load_u16_d16_hi v150, v[vgprLocalReadAddrA] offset:33536 // L -> Reg lro=0 swapByteOffset=32768 ti=64 vIdx=0 rIdx=3 oIdx=0 buffer=0 iui=0
_ds_load_u16 v[vgprValuB_X0_I0+0], v[vgprLocalReadAddrB] offset:32768 // L -> Reg lro=0 swapByteOffset=32768 ti=64 vIdx=0 rIdx=0 oIdx=0 buffer=0 iui=0
_ds_load_u16_d16_hi v153, v[vgprLocalReadAddrB] offset:33152 // L -> Reg lro=0 swapByteOffset=32768 ti=64 vIdx=0 rIdx=1 oIdx=0 buffer=0 iui=0
v_mfma_f32_32x32x8bf16_1k v[48+0:63+0], v[vgprValuB_X1_I0+2+0+0:vgprValuB_X1_I0+2+0+0+1], v[vgprValuA_X1_I0+2+0+0:vgprValuA_X1_I0+2+0+0+1], v[48:63]
/*  mfmaIndex:21  */
_ds_load_u16 v[vgprValuB_X0_I0+1], v[vgprLocalReadAddrB] offset:33536 // L -> Reg lro=0 swapByteOffset=32768 ti=64 vIdx=0 rIdx=2 oIdx=0 buffer=0 iui=0
_ds_load_u16_d16_hi v154, v[vgprLocalReadAddrB] offset:33920 // L -> Reg lro=0 swapByteOffset=32768 ti=64 vIdx=0 rIdx=3 oIdx=0 buffer=0 iui=0
_ds_load_u16 v[vgprValuA_X0_I0+2], v[vgprLocalReadAddrA] offset:32896 // L -> Reg lro=0 swapByteOffset=32768 ti=64 vIdx=1 rIdx=0 oIdx=0 buffer=0 iui=0
_ds_load_u16_d16_hi v151, v[vgprLocalReadAddrA] offset:33152 // L -> Reg lro=0 swapByteOffset=32768 ti=64 vIdx=1 rIdx=1 oIdx=0 buffer=0 iui=0
_ds_load_u16 v[vgprValuA_X0_I0+3], v[vgprLocalReadAddrA] offset:33408 // L -> Reg lro=0 swapByteOffset=32768 ti=64 vIdx=1 rIdx=2 oIdx=0 buffer=0 iui=0
_ds_load_u16_d16_hi v152, v[vgprLocalReadAddrA] offset:33664 // L -> Reg lro=0 swapByteOffset=32768 ti=64 vIdx=1 rIdx=3 oIdx=0 buffer=0 iui=0
v_mfma_f32_32x32x8bf16_1k v[32+0:47+0], v[vgprValuB_X1_I0+2+0+0:vgprValuB_X1_I0+2+0+0+1], v[vgprValuA_X1_I0+0+0+0:vgprValuA_X1_I0+0+0+0+1], v[32:47]
/*  mfmaIndex:22  */
_ds_load_u16 v[vgprValuB_X0_I0+2], v[vgprLocalReadAddrB] offset:32896 // L -> Reg lro=0 swapByteOffset=32768 ti=64 vIdx=1 rIdx=0 oIdx=0 buffer=0 iui=0
_ds_load_u16_d16_hi v155, v[vgprLocalReadAddrB] offset:33280 // L -> Reg lro=0 swapByteOffset=32768 ti=64 vIdx=1 rIdx=1 oIdx=0 buffer=0 iui=0
_ds_load_u16 v[vgprValuB_X0_I0+3], v[vgprLocalReadAddrB] offset:33664 // L -> Reg lro=0 swapByteOffset=32768 ti=64 vIdx=1 rIdx=2 oIdx=0 buffer=0 iui=0
_ds_load_u16_d16_hi v156, v[vgprLocalReadAddrB] offset:34048 // L -> Reg lro=0 swapByteOffset=32768 ti=64 vIdx=1 rIdx=3 oIdx=0 buffer=0 iui=0
	;; [unrolled: 2-line block ×3, first 2 shown]
v_mfma_f32_32x32x8bf16_1k v[64+0:79+0], v[vgprValuB_X1_I0+4+0+0:vgprValuB_X1_I0+4+0+0+1], v[vgprValuA_X1_I0+0+0+0:vgprValuA_X1_I0+0+0+0+1], v[64:79]
/*  mfmaIndex:23  */
_ds_load_u16 v[vgprValuB_X0_I0+5], v[vgprLocalReadAddrB] offset:33792 // L -> Reg lro=0 swapByteOffset=32768 ti=64 vIdx=2 rIdx=2 oIdx=0 buffer=0 iui=0
_ds_load_u16_d16_hi v158, v[vgprLocalReadAddrB] offset:34176 // L -> Reg lro=0 swapByteOffset=32768 ti=64 vIdx=2 rIdx=3 oIdx=0 buffer=0 iui=0
v_mfma_f32_32x32x8bf16_1k v[80+0:95+0], v[vgprValuB_X1_I0+4+0+0:vgprValuB_X1_I0+4+0+0+1], v[vgprValuA_X1_I0+2+0+0:vgprValuA_X1_I0+2+0+0+1], v[80:95]
/* numPrefetchIter=1 */
/* dataAtIterA=2 numReadsIterA=3 skipReadsIterA=1 readsPerIterA=8 */
/* dataAtIterB=2 numReadsIterB=3 skipReadsIterB=1 readsPerIterB=12 */


/******************************************/
/* Unrolled Loop - End 1/2                */
/******************************************/


/* closeLoop loopL finalLoop=0 tailLoop=0 */
s_sub_u32 s[sgprLoopCounterL], s[sgprLoopCounterL], 1 // dec counterL
s_cmp_eq_i32 s[sgprLoopCounterL], 0x2              // counterL==2
s_cbranch_scc1 LoopEndL_oddexit_3                  // exit LoopL


/******************************************/
/* Unrolled Loop 2/2 - Begin              */
/******************************************/

label_0016: // LoopCopy2 


/* Begin Each Unroll: Check VGPR.checkin for INT8 LW */


	;; [unrolled: 1-line block ×3, first 2 shown]
/* iter 0 */

/*  grEndMfmaIndex:2, lwStartMfmaIndex:4, lwEndMfmaIndex:18  */
/*  numMfmaForLR:4, barrierMfmaIndex:19, LocalWritePerMfma:0.295 */
/*  mfmaIndex:0  */
s_waitcnt lgkmcnt(0)                               // lgkmcnt=0 vmcnt=-1wait for prior local read local write old=0, new=0 newLW=0 newLR=0
/* pack scheduling: packAIdx:2, packBIdx:2 */
v_or_b32 v[vgprValuA_X0_I0+0], v[vgprValuA_X0_I0+0], v149 // pack two half Vgpr to one Vgpr
v_or_b32 v[vgprValuA_X0_I0+1], v[vgprValuA_X0_I0+1], v150 // pack two half Vgpr to one Vgpr
v_or_b32 v[vgprValuB_X0_I0+0], v[vgprValuB_X0_I0+0], v153 // pack two half Vgpr to one Vgpr
v_or_b32 v[vgprValuB_X0_I0+1], v[vgprValuB_X0_I0+1], v154 // pack two half Vgpr to one Vgpr
v_or_b32 v[vgprValuA_X0_I0+2], v[vgprValuA_X0_I0+2], v151 // pack two half Vgpr to one Vgpr
v_or_b32 v[vgprValuA_X0_I0+3], v[vgprValuA_X0_I0+3], v152 // pack two half Vgpr to one Vgpr
v_mfma_f32_32x32x8bf16_1k v[0+0:15+0], v[vgprValuB_X0_I0+0+0+0:vgprValuB_X0_I0+0+0+0+1], v[vgprValuA_X0_I0+0+0+0:vgprValuA_X0_I0+0+0+0+1], v[0:15]
/*  mfmaIndex:1  */
_ds_load_u16 v[vgprValuA_X1_I0+0], v[vgprLocalReadAddrA] offset:34816 // L -> Reg lro=1024 swapByteOffset=32768 ti=64 vIdx=0 rIdx=0 oIdx=0 buffer=1 iui=0
_ds_load_u16_d16_hi v159, v[vgprLocalReadAddrA] offset:35072 // L -> Reg lro=1024 swapByteOffset=32768 ti=64 vIdx=0 rIdx=1 oIdx=0 buffer=1 iui=0
_ds_load_u16 v[vgprValuA_X1_I0+1], v[vgprLocalReadAddrA] offset:35328 // L -> Reg lro=1024 swapByteOffset=32768 ti=64 vIdx=0 rIdx=2 oIdx=0 buffer=1 iui=0
_ds_load_u16_d16_hi v160, v[vgprLocalReadAddrA] offset:35584 // L -> Reg lro=1024 swapByteOffset=32768 ti=64 vIdx=0 rIdx=3 oIdx=0 buffer=1 iui=0
_ds_load_u16 v[vgprValuB_X1_I0+0], v[vgprLocalReadAddrB] offset:35840 // L -> Reg lro=1536 swapByteOffset=32768 ti=64 vIdx=0 rIdx=0 oIdx=0 buffer=1 iui=0
_ds_load_u16_d16_hi v163, v[vgprLocalReadAddrB] offset:36224 // L -> Reg lro=1536 swapByteOffset=32768 ti=64 vIdx=0 rIdx=1 oIdx=0 buffer=1 iui=0

/* global read inc A loopL */
s_add_u32 s[sgprSrdA+0], s[sgprSrdA+0], s[sgprGlobalReadIncsA+0] // gra SRD += inc(lower)
s_addc_u32  s[sgprSrdA+1], s[sgprSrdA+1], 0        // gra SRD += inc(upper)
s_sub_u32 s[sgprShadowLimitA+0], s[sgprShadowLimitA+0], s[sgprGlobalReadIncsA+0] // limit -= inc)
s_subb_u32 s[sgprShadowLimitA+1], s[sgprShadowLimitA+1], 0 // limit -= inc)
s_cmp_eq_u32 s[sgprShadowLimitA+1], 0              // are we within 2^32?
s_cmov_b32 s[sgprSrdA+2], s[sgprShadowLimitA+0]    // Move shadow to real if we are within 2^32

/* global read inc B loopL */
s_add_u32 s[sgprSrdB+0], s[sgprSrdB+0], s[sgprGlobalReadIncsB+0] // gra SRD += inc(lower)
/* pack scheduling: packAIdx:4, packBIdx:2 */
v_or_b32 v[vgprValuB_X0_I0+2], v[vgprValuB_X0_I0+2], v155 // pack two half Vgpr to one Vgpr
v_or_b32 v[vgprValuB_X0_I0+3], v[vgprValuB_X0_I0+3], v156 // pack two half Vgpr to one Vgpr
	;; [unrolled: 1-line block ×4, first 2 shown]
v_mfma_f32_32x32x8bf16_1k v[16+0:31+0], v[vgprValuB_X0_I0+0+0+0:vgprValuB_X0_I0+0+0+0+1], v[vgprValuA_X0_I0+2+0+0:vgprValuA_X0_I0+2+0+0+1], v[16:31]
/*  mfmaIndex:2  */
_ds_load_u16 v[vgprValuB_X1_I0+1], v[vgprLocalReadAddrB] offset:36608 // L -> Reg lro=1536 swapByteOffset=32768 ti=64 vIdx=0 rIdx=2 oIdx=0 buffer=1 iui=0
_ds_load_u16_d16_hi v164, v[vgprLocalReadAddrB] offset:36992 // L -> Reg lro=1536 swapByteOffset=32768 ti=64 vIdx=0 rIdx=3 oIdx=0 buffer=1 iui=0
_ds_load_u16 v[vgprValuA_X1_I0+2], v[vgprLocalReadAddrA] offset:34944 // L -> Reg lro=1024 swapByteOffset=32768 ti=64 vIdx=1 rIdx=0 oIdx=0 buffer=1 iui=0
_ds_load_u16_d16_hi v161, v[vgprLocalReadAddrA] offset:35200 // L -> Reg lro=1024 swapByteOffset=32768 ti=64 vIdx=1 rIdx=1 oIdx=0 buffer=1 iui=0
_ds_load_u16 v[vgprValuA_X1_I0+3], v[vgprLocalReadAddrA] offset:35456 // L -> Reg lro=1024 swapByteOffset=32768 ti=64 vIdx=1 rIdx=2 oIdx=0 buffer=1 iui=0
_ds_load_u16_d16_hi v162, v[vgprLocalReadAddrA] offset:35712 // L -> Reg lro=1024 swapByteOffset=32768 ti=64 vIdx=1 rIdx=3 oIdx=0 buffer=1 iui=0
s_addc_u32  s[sgprSrdB+1], s[sgprSrdB+1], 0        // gra SRD += inc(upper)
s_sub_u32 s[sgprShadowLimitB+0], s[sgprShadowLimitB+0], s[sgprGlobalReadIncsB+0] // limit -= inc)
s_subb_u32 s[sgprShadowLimitB+1], s[sgprShadowLimitB+1], 0 // limit -= inc)
s_cmp_eq_u32 s[sgprShadowLimitB+1], 0              // are we within 2^32?
s_cmov_b32 s[sgprSrdB+2], s[sgprShadowLimitB+0]    // Move shadow to real if we are within 2^32
v_mfma_f32_32x32x8bf16_1k v[48+0:63+0], v[vgprValuB_X0_I0+2+0+0:vgprValuB_X0_I0+2+0+0+1], v[vgprValuA_X0_I0+2+0+0:vgprValuA_X0_I0+2+0+0+1], v[48:63]
/*  mfmaIndex:3  */
_ds_load_u16 v[vgprValuB_X1_I0+2], v[vgprLocalReadAddrB] offset:35968 // L -> Reg lro=1536 swapByteOffset=32768 ti=64 vIdx=1 rIdx=0 oIdx=0 buffer=1 iui=0
_ds_load_u16_d16_hi v165, v[vgprLocalReadAddrB] offset:36352 // L -> Reg lro=1536 swapByteOffset=32768 ti=64 vIdx=1 rIdx=1 oIdx=0 buffer=1 iui=0
_ds_load_u16 v[vgprValuB_X1_I0+3], v[vgprLocalReadAddrB] offset:36736 // L -> Reg lro=1536 swapByteOffset=32768 ti=64 vIdx=1 rIdx=2 oIdx=0 buffer=1 iui=0
_ds_load_u16_d16_hi v166, v[vgprLocalReadAddrB] offset:37120 // L -> Reg lro=1536 swapByteOffset=32768 ti=64 vIdx=1 rIdx=3 oIdx=0 buffer=1 iui=0
	;; [unrolled: 2-line block ×3, first 2 shown]
v_mfma_f32_32x32x8bf16_1k v[32+0:47+0], v[vgprValuB_X0_I0+2+0+0:vgprValuB_X0_I0+2+0+0+1], v[vgprValuA_X0_I0+0+0+0:vgprValuA_X0_I0+0+0+0+1], v[32:47]
/*  mfmaIndex:4  */
_ds_load_u16 v[vgprValuB_X1_I0+5], v[vgprLocalReadAddrB] offset:36864 // L -> Reg lro=1536 swapByteOffset=32768 ti=64 vIdx=2 rIdx=2 oIdx=0 buffer=1 iui=0
_ds_load_u16_d16_hi v168, v[vgprLocalReadAddrB] offset:37248 // L -> Reg lro=1536 swapByteOffset=32768 ti=64 vIdx=2 rIdx=3 oIdx=0 buffer=1 iui=0
/* sched write - iter 0 writesPerItem=1 */
s_waitcnt vmcnt(0)                                 // lgkmcnt=-1 vmcnt=0wait for global read before writing to local
v_cvt_f32_f16 v[vgprG2Lpipe0], v[vgprG2LA+0]       // 
v_cvt_f32_f16 v[vgprG2Lpipe1], v[vgprG2LA+0], src0_sel:WORD_1 // 
v_pack_b32_f16 v[vgprG2LA+0], v[vgprG2Lpipe0], v[vgprG2Lpipe1], op_sel:[1,1,0] // 
v_cvt_f32_f16 v[vgprG2Lpipe0], v[vgprG2LA+1]       // 
v_cvt_f32_f16 v[vgprG2Lpipe1], v[vgprG2LA+1], src0_sel:WORD_1 // 
v_pack_b32_f16 v[vgprG2LA+1], v[vgprG2Lpipe0], v[vgprG2Lpipe1], op_sel:[1,1,0] // 
	;; [unrolled: 3-line block ×4, first 2 shown]
_ds_store_b128 v[vgprLocalWriteAddrA], v[vgprG2LA+0:vgprG2LA+0+3] offset:0 // lwoA_0_0_0_0 = (0*LSCA) + (0*LSPA)(*MT0I+PAD) = 0
v_mfma_f32_32x32x8bf16_1k v[64+0:79+0], v[vgprValuB_X0_I0+4+0+0:vgprValuB_X0_I0+4+0+0+1], v[vgprValuA_X0_I0+0+0+0:vgprValuA_X0_I0+0+0+0+1], v[64:79]
/*  mfmaIndex:5  */
/* localReadsVacancy: latencyLeft 13 */
_buffer_load_b128 v[vgprG2LA+0:vgprG2LA+0+3], v[vgprGlobalReadOffsetA+0], s[sgprSrdA:sgprSrdA+3], 0, offen offset:0 // G -> Reg 0_0_0_0
v_mfma_f32_32x32x8bf16_1k v[80+0:95+0], v[vgprValuB_X0_I0+4+0+0:vgprValuB_X0_I0+4+0+0+1], v[vgprValuA_X0_I0+2+0+0:vgprValuA_X0_I0+2+0+0+1], v[80:95]
/* numPrefetchIter=0 */
/* dataAtIterA=-1 numReadsIterA=1 skipReadsIterA=1 readsPerIterA=8 */
/* dataAtIterB=-1 numReadsIterB=1 skipReadsIterB=1 readsPerIterB=12 */


/* iter 1 */

/*  grEndMfmaIndex:2, lwStartMfmaIndex:4, lwEndMfmaIndex:18  */
/*  numMfmaForLR:4, barrierMfmaIndex:19, LocalWritePerMfma:0.295 */
/*  mfmaIndex:6  */
_ds_load_u16 v[vgprValuA_X0_I0+0], v[vgprLocalReadAddrA] offset:36864 // L -> Reg lro=2048 swapByteOffset=32768 ti=64 vIdx=0 rIdx=0 oIdx=0 buffer=0 iui=0
_ds_load_u16_d16_hi v149, v[vgprLocalReadAddrA] offset:37120 // L -> Reg lro=2048 swapByteOffset=32768 ti=64 vIdx=0 rIdx=1 oIdx=0 buffer=0 iui=0
_ds_load_u16 v[vgprValuA_X0_I0+1], v[vgprLocalReadAddrA] offset:37376 // L -> Reg lro=2048 swapByteOffset=32768 ti=64 vIdx=0 rIdx=2 oIdx=0 buffer=0 iui=0
_ds_load_u16_d16_hi v150, v[vgprLocalReadAddrA] offset:37632 // L -> Reg lro=2048 swapByteOffset=32768 ti=64 vIdx=0 rIdx=3 oIdx=0 buffer=0 iui=0
_ds_load_u16 v[vgprValuB_X0_I0+0], v[vgprLocalReadAddrB] offset:38912 // L -> Reg lro=3072 swapByteOffset=32768 ti=64 vIdx=0 rIdx=0 oIdx=0 buffer=0 iui=0
_ds_load_u16_d16_hi v153, v[vgprLocalReadAddrB] offset:39296 // L -> Reg lro=3072 swapByteOffset=32768 ti=64 vIdx=0 rIdx=1 oIdx=0 buffer=0 iui=0
s_waitcnt lgkmcnt(7)                               // lgkmcnt=0 vmcnt=-1wait for prior local read local write old=0, new=7 newLW=1 newLR=6
/* pack scheduling: packAIdx:2, packBIdx:2 */
v_or_b32 v[vgprValuA_X1_I0+0], v[vgprValuA_X1_I0+0], v159 // pack two half Vgpr to one Vgpr
v_or_b32 v[vgprValuA_X1_I0+1], v[vgprValuA_X1_I0+1], v160 // pack two half Vgpr to one Vgpr
v_or_b32 v[vgprValuB_X1_I0+0], v[vgprValuB_X1_I0+0], v163 // pack two half Vgpr to one Vgpr
v_or_b32 v[vgprValuB_X1_I0+1], v[vgprValuB_X1_I0+1], v164 // pack two half Vgpr to one Vgpr
v_or_b32 v[vgprValuA_X1_I0+2], v[vgprValuA_X1_I0+2], v161 // pack two half Vgpr to one Vgpr
v_or_b32 v[vgprValuA_X1_I0+3], v[vgprValuA_X1_I0+3], v162 // pack two half Vgpr to one Vgpr
v_mfma_f32_32x32x8bf16_1k v[0+0:15+0], v[vgprValuB_X1_I0+0+0+0:vgprValuB_X1_I0+0+0+0+1], v[vgprValuA_X1_I0+0+0+0:vgprValuA_X1_I0+0+0+0+1], v[0:15]
/*  mfmaIndex:7  */
_ds_load_u16 v[vgprValuB_X0_I0+1], v[vgprLocalReadAddrB] offset:39680 // L -> Reg lro=3072 swapByteOffset=32768 ti=64 vIdx=0 rIdx=2 oIdx=0 buffer=0 iui=0
_ds_load_u16_d16_hi v154, v[vgprLocalReadAddrB] offset:40064 // L -> Reg lro=3072 swapByteOffset=32768 ti=64 vIdx=0 rIdx=3 oIdx=0 buffer=0 iui=0
_ds_load_u16 v[vgprValuA_X0_I0+2], v[vgprLocalReadAddrA] offset:36992 // L -> Reg lro=2048 swapByteOffset=32768 ti=64 vIdx=1 rIdx=0 oIdx=0 buffer=0 iui=0
_ds_load_u16_d16_hi v151, v[vgprLocalReadAddrA] offset:37248 // L -> Reg lro=2048 swapByteOffset=32768 ti=64 vIdx=1 rIdx=1 oIdx=0 buffer=0 iui=0
/* sched write - iter 1 writesPerItem=1 */
s_waitcnt vmcnt(0)                                 // lgkmcnt=-1 vmcnt=0wait for global read before writing to local
v_cvt_f32_f16 v[vgprG2Lpipe0], v[vgprG2LA+4]       // 
v_cvt_f32_f16 v[vgprG2Lpipe1], v[vgprG2LA+4], src0_sel:WORD_1 // 
v_pack_b32_f16 v[vgprG2LA+4], v[vgprG2Lpipe0], v[vgprG2Lpipe1], op_sel:[1,1,0] // 
v_cvt_f32_f16 v[vgprG2Lpipe0], v[vgprG2LA+5]       // 
v_cvt_f32_f16 v[vgprG2Lpipe1], v[vgprG2LA+5], src0_sel:WORD_1 // 
v_pack_b32_f16 v[vgprG2LA+5], v[vgprG2Lpipe0], v[vgprG2Lpipe1], op_sel:[1,1,0] // 
	;; [unrolled: 3-line block ×4, first 2 shown]
_ds_store_b128 v[vgprLocalWriteAddrA], v[vgprG2LA+4:vgprG2LA+4+3] offset:1024 // lwoA_0_0_1_0 = (0*LSCA) + (1*LSPA)(*MT0I+PAD) = 1024
/* pack scheduling: packAIdx:4, packBIdx:2 */
v_or_b32 v[vgprValuB_X1_I0+2], v[vgprValuB_X1_I0+2], v165 // pack two half Vgpr to one Vgpr
v_or_b32 v[vgprValuB_X1_I0+3], v[vgprValuB_X1_I0+3], v166 // pack two half Vgpr to one Vgpr
	;; [unrolled: 1-line block ×4, first 2 shown]
v_mfma_f32_32x32x8bf16_1k v[16+0:31+0], v[vgprValuB_X1_I0+0+0+0:vgprValuB_X1_I0+0+0+0+1], v[vgprValuA_X1_I0+2+0+0:vgprValuA_X1_I0+2+0+0+1], v[16:31]
/*  mfmaIndex:8  */
_ds_load_u16 v[vgprValuA_X0_I0+3], v[vgprLocalReadAddrA] offset:37504 // L -> Reg lro=2048 swapByteOffset=32768 ti=64 vIdx=1 rIdx=2 oIdx=0 buffer=0 iui=0
_ds_load_u16_d16_hi v152, v[vgprLocalReadAddrA] offset:37760 // L -> Reg lro=2048 swapByteOffset=32768 ti=64 vIdx=1 rIdx=3 oIdx=0 buffer=0 iui=0
_ds_load_u16 v[vgprValuB_X0_I0+2], v[vgprLocalReadAddrB] offset:39040 // L -> Reg lro=3072 swapByteOffset=32768 ti=64 vIdx=1 rIdx=0 oIdx=0 buffer=0 iui=0
_ds_load_u16_d16_hi v155, v[vgprLocalReadAddrB] offset:39424 // L -> Reg lro=3072 swapByteOffset=32768 ti=64 vIdx=1 rIdx=1 oIdx=0 buffer=0 iui=0
_ds_load_u16 v[vgprValuB_X0_I0+3], v[vgprLocalReadAddrB] offset:39808 // L -> Reg lro=3072 swapByteOffset=32768 ti=64 vIdx=1 rIdx=2 oIdx=0 buffer=0 iui=0
_ds_load_u16_d16_hi v156, v[vgprLocalReadAddrB] offset:40192 // L -> Reg lro=3072 swapByteOffset=32768 ti=64 vIdx=1 rIdx=3 oIdx=0 buffer=0 iui=0
_buffer_load_b128 v[vgprG2LA+4:vgprG2LA+4+3], v[vgprGlobalReadOffsetA+1], s[sgprSrdA:sgprSrdA+3], 0, offen offset:0 // G -> Reg 0_0_1_0
v_mfma_f32_32x32x8bf16_1k v[48+0:63+0], v[vgprValuB_X1_I0+2+0+0:vgprValuB_X1_I0+2+0+0+1], v[vgprValuA_X1_I0+2+0+0:vgprValuA_X1_I0+2+0+0+1], v[48:63]
/*  mfmaIndex:9  */
_ds_load_u16 v[vgprValuB_X0_I0+4], v[vgprLocalReadAddrB] offset:39168 // L -> Reg lro=3072 swapByteOffset=32768 ti=64 vIdx=2 rIdx=0 oIdx=0 buffer=0 iui=0
_ds_load_u16_d16_hi v157, v[vgprLocalReadAddrB] offset:39552 // L -> Reg lro=3072 swapByteOffset=32768 ti=64 vIdx=2 rIdx=1 oIdx=0 buffer=0 iui=0
_ds_load_u16 v[vgprValuB_X0_I0+5], v[vgprLocalReadAddrB] offset:39936 // L -> Reg lro=3072 swapByteOffset=32768 ti=64 vIdx=2 rIdx=2 oIdx=0 buffer=0 iui=0
_ds_load_u16_d16_hi v158, v[vgprLocalReadAddrB] offset:40320 // L -> Reg lro=3072 swapByteOffset=32768 ti=64 vIdx=2 rIdx=3 oIdx=0 buffer=0 iui=0
/* localReadsVacancy: latencyLeft 5 */
v_mfma_f32_32x32x8bf16_1k v[32+0:47+0], v[vgprValuB_X1_I0+2+0+0:vgprValuB_X1_I0+2+0+0+1], v[vgprValuA_X1_I0+0+0+0:vgprValuA_X1_I0+0+0+0+1], v[32:47]
/*  mfmaIndex:10  */
/* localReadsVacancy: latencyLeft 3 */
/* sched write - iter 1 writesPerItem=1 */
s_waitcnt vmcnt(0)                                 // lgkmcnt=-1 vmcnt=0wait for global read before writing to local
v_cvt_f32_f16 v[vgprG2Lpipe0], v[vgprG2LB+0]       // 
v_cvt_f32_f16 v[vgprG2Lpipe1], v[vgprG2LB+0], src0_sel:WORD_1 // 
v_pack_b32_f16 v[vgprG2LB+0], v[vgprG2Lpipe0], v[vgprG2Lpipe1], op_sel:[1,1,0] // 
v_cvt_f32_f16 v[vgprG2Lpipe0], v[vgprG2LB+1]       // 
v_cvt_f32_f16 v[vgprG2Lpipe1], v[vgprG2LB+1], src0_sel:WORD_1 // 
v_pack_b32_f16 v[vgprG2LB+1], v[vgprG2Lpipe0], v[vgprG2Lpipe1], op_sel:[1,1,0] // 
	;; [unrolled: 3-line block ×4, first 2 shown]
_ds_store_b128 v[vgprLocalWriteAddrB], v[vgprG2LB+0:vgprG2LB+0+3] offset:0 // lwoB_0_0_0_0 = (0*LSCB) + (0*LSPB)(*MT1J+PAD) = 0
v_mfma_f32_32x32x8bf16_1k v[64+0:79+0], v[vgprValuB_X1_I0+4+0+0:vgprValuB_X1_I0+4+0+0+1], v[vgprValuA_X1_I0+0+0+0:vgprValuA_X1_I0+0+0+0+1], v[64:79]
/*  mfmaIndex:11  */
/* localReadsVacancy: latencyLeft 13 */
_buffer_load_b128 v[vgprG2LB+0:vgprG2LB+0+3], v[vgprGlobalReadOffsetB+0], s[sgprSrdB:sgprSrdB+3], 0, offen offset:0 // G -> Reg 0_0_0_0
v_mfma_f32_32x32x8bf16_1k v[80+0:95+0], v[vgprValuB_X1_I0+4+0+0:vgprValuB_X1_I0+4+0+0+1], v[vgprValuA_X1_I0+2+0+0:vgprValuA_X1_I0+2+0+0+1], v[80:95]
/* numPrefetchIter=0 */
/* dataAtIterA=0 numReadsIterA=2 skipReadsIterA=1 readsPerIterA=8 */
/* dataAtIterB=0 numReadsIterB=2 skipReadsIterB=1 readsPerIterB=12 */


/* iter 2 (reset local read pointers iteration)  (swap local read pointers iteration)  */

/*  grEndMfmaIndex:2, lwStartMfmaIndex:4, lwEndMfmaIndex:18  */
/*  numMfmaForLR:4, barrierMfmaIndex:19, LocalWritePerMfma:0.295 */
/*  mfmaIndex:12  */
_ds_load_u16 v[vgprValuA_X1_I0+0], v[vgprLocalReadAddrA] offset:38912 // L -> Reg lro=3072 swapByteOffset=32768 ti=64 vIdx=0 rIdx=0 oIdx=0 buffer=1 iui=0
_ds_load_u16_d16_hi v159, v[vgprLocalReadAddrA] offset:39168 // L -> Reg lro=3072 swapByteOffset=32768 ti=64 vIdx=0 rIdx=1 oIdx=0 buffer=1 iui=0
_ds_load_u16 v[vgprValuA_X1_I0+1], v[vgprLocalReadAddrA] offset:39424 // L -> Reg lro=3072 swapByteOffset=32768 ti=64 vIdx=0 rIdx=2 oIdx=0 buffer=1 iui=0
_ds_load_u16_d16_hi v160, v[vgprLocalReadAddrA] offset:39680 // L -> Reg lro=3072 swapByteOffset=32768 ti=64 vIdx=0 rIdx=3 oIdx=0 buffer=1 iui=0
_ds_load_u16 v[vgprValuB_X1_I0+0], v[vgprLocalReadAddrB] offset:41984 // L -> Reg lro=4608 swapByteOffset=32768 ti=64 vIdx=0 rIdx=0 oIdx=0 buffer=1 iui=0
_ds_load_u16_d16_hi v163, v[vgprLocalReadAddrB] offset:42368 // L -> Reg lro=4608 swapByteOffset=32768 ti=64 vIdx=0 rIdx=1 oIdx=0 buffer=1 iui=0
s_waitcnt lgkmcnt(7)                               // lgkmcnt=0 vmcnt=-1wait for prior local read local write old=0, new=7 newLW=1 newLR=6
/* pack scheduling: packAIdx:2, packBIdx:2 */
v_or_b32 v[vgprValuA_X0_I0+0], v[vgprValuA_X0_I0+0], v149 // pack two half Vgpr to one Vgpr
v_or_b32 v[vgprValuA_X0_I0+1], v[vgprValuA_X0_I0+1], v150 // pack two half Vgpr to one Vgpr
v_or_b32 v[vgprValuB_X0_I0+0], v[vgprValuB_X0_I0+0], v153 // pack two half Vgpr to one Vgpr
v_or_b32 v[vgprValuB_X0_I0+1], v[vgprValuB_X0_I0+1], v154 // pack two half Vgpr to one Vgpr
v_or_b32 v[vgprValuA_X0_I0+2], v[vgprValuA_X0_I0+2], v151 // pack two half Vgpr to one Vgpr
v_or_b32 v[vgprValuA_X0_I0+3], v[vgprValuA_X0_I0+3], v152 // pack two half Vgpr to one Vgpr
v_mfma_f32_32x32x8bf16_1k v[0+0:15+0], v[vgprValuB_X0_I0+0+0+0:vgprValuB_X0_I0+0+0+0+1], v[vgprValuA_X0_I0+0+0+0:vgprValuA_X0_I0+0+0+0+1], v[0:15]
/*  mfmaIndex:13  */
_ds_load_u16 v[vgprValuB_X1_I0+1], v[vgprLocalReadAddrB] offset:42752 // L -> Reg lro=4608 swapByteOffset=32768 ti=64 vIdx=0 rIdx=2 oIdx=0 buffer=1 iui=0
_ds_load_u16_d16_hi v164, v[vgprLocalReadAddrB] offset:43136 // L -> Reg lro=4608 swapByteOffset=32768 ti=64 vIdx=0 rIdx=3 oIdx=0 buffer=1 iui=0
_ds_load_u16 v[vgprValuA_X1_I0+2], v[vgprLocalReadAddrA] offset:39040 // L -> Reg lro=3072 swapByteOffset=32768 ti=64 vIdx=1 rIdx=0 oIdx=0 buffer=1 iui=0
_ds_load_u16_d16_hi v161, v[vgprLocalReadAddrA] offset:39296 // L -> Reg lro=3072 swapByteOffset=32768 ti=64 vIdx=1 rIdx=1 oIdx=0 buffer=1 iui=0
_ds_load_u16 v[vgprValuA_X1_I0+3], v[vgprLocalReadAddrA] offset:39552 // L -> Reg lro=3072 swapByteOffset=32768 ti=64 vIdx=1 rIdx=2 oIdx=0 buffer=1 iui=0
_ds_load_u16_d16_hi v162, v[vgprLocalReadAddrA] offset:39808 // L -> Reg lro=3072 swapByteOffset=32768 ti=64 vIdx=1 rIdx=3 oIdx=0 buffer=1 iui=0
/* pack scheduling: packAIdx:4, packBIdx:2 */
v_or_b32 v[vgprValuB_X0_I0+2], v[vgprValuB_X0_I0+2], v155 // pack two half Vgpr to one Vgpr
v_or_b32 v[vgprValuB_X0_I0+3], v[vgprValuB_X0_I0+3], v156 // pack two half Vgpr to one Vgpr
	;; [unrolled: 1-line block ×4, first 2 shown]
v_mfma_f32_32x32x8bf16_1k v[16+0:31+0], v[vgprValuB_X0_I0+0+0+0:vgprValuB_X0_I0+0+0+0+1], v[vgprValuA_X0_I0+2+0+0:vgprValuA_X0_I0+2+0+0+1], v[16:31]
/*  mfmaIndex:14  */
_ds_load_u16 v[vgprValuB_X1_I0+2], v[vgprLocalReadAddrB] offset:42112 // L -> Reg lro=4608 swapByteOffset=32768 ti=64 vIdx=1 rIdx=0 oIdx=0 buffer=1 iui=0
_ds_load_u16_d16_hi v165, v[vgprLocalReadAddrB] offset:42496 // L -> Reg lro=4608 swapByteOffset=32768 ti=64 vIdx=1 rIdx=1 oIdx=0 buffer=1 iui=0
_ds_load_u16 v[vgprValuB_X1_I0+3], v[vgprLocalReadAddrB] offset:42880 // L -> Reg lro=4608 swapByteOffset=32768 ti=64 vIdx=1 rIdx=2 oIdx=0 buffer=1 iui=0
/* sched write - iter 2 writesPerItem=1 */
s_waitcnt vmcnt(0)                                 // lgkmcnt=-1 vmcnt=0wait for global read before writing to local
v_cvt_f32_f16 v[vgprG2Lpipe0], v[vgprG2LB+4]       // 
v_cvt_f32_f16 v[vgprG2Lpipe1], v[vgprG2LB+4], src0_sel:WORD_1 // 
v_pack_b32_f16 v[vgprG2LB+4], v[vgprG2Lpipe0], v[vgprG2Lpipe1], op_sel:[1,1,0] // 
v_cvt_f32_f16 v[vgprG2Lpipe0], v[vgprG2LB+5]       // 
v_cvt_f32_f16 v[vgprG2Lpipe1], v[vgprG2LB+5], src0_sel:WORD_1 // 
v_pack_b32_f16 v[vgprG2LB+5], v[vgprG2Lpipe0], v[vgprG2Lpipe1], op_sel:[1,1,0] // 
	;; [unrolled: 3-line block ×4, first 2 shown]
_ds_store_b128 v[vgprLocalWriteAddrB], v[vgprG2LB+4:vgprG2LB+4+3] offset:128 // lwoB_1_0_0_0 = (1*LSCB) + (0*LSPB)(*MT1J+PAD) = 128
v_mfma_f32_32x32x8bf16_1k v[48+0:63+0], v[vgprValuB_X0_I0+2+0+0:vgprValuB_X0_I0+2+0+0+1], v[vgprValuA_X0_I0+2+0+0:vgprValuA_X0_I0+2+0+0+1], v[48:63]
/*  mfmaIndex:15  */
_ds_load_u16_d16_hi v166, v[vgprLocalReadAddrB] offset:43264 // L -> Reg lro=4608 swapByteOffset=32768 ti=64 vIdx=1 rIdx=3 oIdx=0 buffer=1 iui=0
_ds_load_u16 v[vgprValuB_X1_I0+4], v[vgprLocalReadAddrB] offset:42240 // L -> Reg lro=4608 swapByteOffset=32768 ti=64 vIdx=2 rIdx=0 oIdx=0 buffer=1 iui=0
_ds_load_u16_d16_hi v167, v[vgprLocalReadAddrB] offset:42624 // L -> Reg lro=4608 swapByteOffset=32768 ti=64 vIdx=2 rIdx=1 oIdx=0 buffer=1 iui=0
_ds_load_u16 v[vgprValuB_X1_I0+5], v[vgprLocalReadAddrB] offset:43008 // L -> Reg lro=4608 swapByteOffset=32768 ti=64 vIdx=2 rIdx=2 oIdx=0 buffer=1 iui=0
_ds_load_u16_d16_hi v168, v[vgprLocalReadAddrB] offset:43392 // L -> Reg lro=4608 swapByteOffset=32768 ti=64 vIdx=2 rIdx=3 oIdx=0 buffer=1 iui=0
/* localReadsVacancy: latencyLeft 3 */
_buffer_load_b128 v[vgprG2LB+4:vgprG2LB+4+3], v[vgprGlobalReadOffsetB+1], s[sgprSrdB:sgprSrdB+3], 0, offen offset:0 // G -> Reg 1_0_0_0
v_mfma_f32_32x32x8bf16_1k v[32+0:47+0], v[vgprValuB_X0_I0+2+0+0:vgprValuB_X0_I0+2+0+0+1], v[vgprValuA_X0_I0+0+0+0:vgprValuA_X0_I0+0+0+0+1], v[32:47]
/*  mfmaIndex:16  */
/* localReadsVacancy: latencyLeft 13 */
v_mfma_f32_32x32x8bf16_1k v[64+0:79+0], v[vgprValuB_X0_I0+4+0+0:vgprValuB_X0_I0+4+0+0+1], v[vgprValuA_X0_I0+0+0+0:vgprValuA_X0_I0+0+0+0+1], v[64:79]
/*  mfmaIndex:17  */
/* localReadsVacancy: latencyLeft 3 */
/* sched write - iter 2 writesPerItem=1 */
s_waitcnt vmcnt(0)                                 // lgkmcnt=-1 vmcnt=0wait for global read before writing to local
v_cvt_f32_f16 v[vgprG2Lpipe0], v[vgprG2LB+8]       // 
v_cvt_f32_f16 v[vgprG2Lpipe1], v[vgprG2LB+8], src0_sel:WORD_1 // 
v_pack_b32_f16 v[vgprG2LB+8], v[vgprG2Lpipe0], v[vgprG2Lpipe1], op_sel:[1,1,0] // 
v_cvt_f32_f16 v[vgprG2Lpipe0], v[vgprG2LB+9]       // 
v_cvt_f32_f16 v[vgprG2Lpipe1], v[vgprG2LB+9], src0_sel:WORD_1 // 
v_pack_b32_f16 v[vgprG2LB+9], v[vgprG2Lpipe0], v[vgprG2Lpipe1], op_sel:[1,1,0] // 
v_cvt_f32_f16 v[vgprG2Lpipe0], v[vgprG2LB+10]      // 
v_cvt_f32_f16 v[vgprG2Lpipe1], v[vgprG2LB+10], src0_sel:WORD_1 // 
v_pack_b32_f16 v[vgprG2LB+10], v[vgprG2Lpipe0], v[vgprG2Lpipe1], op_sel:[1,1,0] // 
v_cvt_f32_f16 v[vgprG2Lpipe0], v[vgprG2LB+11]      // 
v_cvt_f32_f16 v[vgprG2Lpipe1], v[vgprG2LB+11], src0_sel:WORD_1 // 
v_pack_b32_f16 v[vgprG2LB+11], v[vgprG2Lpipe0], v[vgprG2Lpipe1], op_sel:[1,1,0] // 
_ds_store_b128 v[vgprLocalWriteAddrB], v[vgprG2LB+8:vgprG2LB+8+3] offset:256 // lwoB_2_0_0_0 = (2*LSCB) + (0*LSPB)(*MT1J+PAD) = 256

/* local read swap offsets a */

/* local read swap internal offset -> 0 */

/* local read swap offsets b */

/* local read swap internal offset -> 0 */

/* local read init pointers a */

/* localReadInitPointers */

/* local read init pointers b */

/* localReadInitPointers */
v_mfma_f32_32x32x8bf16_1k v[80+0:95+0], v[vgprValuB_X0_I0+4+0+0:vgprValuB_X0_I0+4+0+0+1], v[vgprValuA_X0_I0+2+0+0:vgprValuA_X0_I0+2+0+0+1], v[80:95]
/* numPrefetchIter=0 */
/* dataAtIterA=1 numReadsIterA=3 skipReadsIterA=1 readsPerIterA=8 */
/* dataAtIterB=1 numReadsIterB=3 skipReadsIterB=1 readsPerIterB=12 */


/* iter 3 (swap and reset local write pointers iteration)  */

/*  grEndMfmaIndex:2, lwStartMfmaIndex:4, lwEndMfmaIndex:18  */
/*  numMfmaForLR:4, barrierMfmaIndex:19, LocalWritePerMfma:0.295 */
/*  mfmaIndex:18  */
_buffer_load_b128 v[vgprG2LB+8:vgprG2LB+8+3], v[vgprGlobalReadOffsetB+2], s[sgprSrdB:sgprSrdB+3], 0, offen offset:0 // G -> Reg 2_0_0_0

/* local write swap offsets a */

/* (EPS=1) local write swap internal offset -> 32768 */

/* local write swap offsets b */

/* (EPS=1) local write swap internal offset -> 32768 */
s_waitcnt lgkmcnt(1)                               // lgkmcnt=0 vmcnt=-1wait for prior local read local write old=0, new=1 newLW=1 newLR=0
/* pack scheduling: packAIdx:2, packBIdx:2 */
v_or_b32 v[vgprValuA_X1_I0+0], v[vgprValuA_X1_I0+0], v159 // pack two half Vgpr to one Vgpr
v_or_b32 v[vgprValuA_X1_I0+1], v[vgprValuA_X1_I0+1], v160 // pack two half Vgpr to one Vgpr
v_or_b32 v[vgprValuB_X1_I0+0], v[vgprValuB_X1_I0+0], v163 // pack two half Vgpr to one Vgpr
v_or_b32 v[vgprValuB_X1_I0+1], v[vgprValuB_X1_I0+1], v164 // pack two half Vgpr to one Vgpr
v_or_b32 v[vgprValuA_X1_I0+2], v[vgprValuA_X1_I0+2], v161 // pack two half Vgpr to one Vgpr
v_or_b32 v[vgprValuA_X1_I0+3], v[vgprValuA_X1_I0+3], v162 // pack two half Vgpr to one Vgpr
v_mfma_f32_32x32x8bf16_1k v[0+0:15+0], v[vgprValuB_X1_I0+0+0+0:vgprValuB_X1_I0+0+0+0+1], v[vgprValuA_X1_I0+0+0+0:vgprValuA_X1_I0+0+0+0+1], v[0:15]
/*  mfmaIndex:19  */
s_waitcnt lgkmcnt(0)                               // lgkmcnt=0 vmcnt=-13wait for local write
// Skip force waitcnt0
s_barrier //
/* pack scheduling: packAIdx:4, packBIdx:2 */
v_or_b32 v[vgprValuB_X1_I0+2], v[vgprValuB_X1_I0+2], v165 // pack two half Vgpr to one Vgpr
v_or_b32 v[vgprValuB_X1_I0+3], v[vgprValuB_X1_I0+3], v166 // pack two half Vgpr to one Vgpr
	;; [unrolled: 1-line block ×4, first 2 shown]
v_mfma_f32_32x32x8bf16_1k v[16+0:31+0], v[vgprValuB_X1_I0+0+0+0:vgprValuB_X1_I0+0+0+0+1], v[vgprValuA_X1_I0+2+0+0:vgprValuA_X1_I0+2+0+0+1], v[16:31]
/*  mfmaIndex:20  */
_ds_load_u16 v[vgprValuA_X0_I0+0], v[vgprLocalReadAddrA] offset:0 // L -> Reg lro=0 swapByteOffset=0 ti=64 vIdx=0 rIdx=0 oIdx=0 buffer=0 iui=0
_ds_load_u16_d16_hi v149, v[vgprLocalReadAddrA] offset:256 // L -> Reg lro=0 swapByteOffset=0 ti=64 vIdx=0 rIdx=1 oIdx=0 buffer=0 iui=0
_ds_load_u16 v[vgprValuA_X0_I0+1], v[vgprLocalReadAddrA] offset:512 // L -> Reg lro=0 swapByteOffset=0 ti=64 vIdx=0 rIdx=2 oIdx=0 buffer=0 iui=0
_ds_load_u16_d16_hi v150, v[vgprLocalReadAddrA] offset:768 // L -> Reg lro=0 swapByteOffset=0 ti=64 vIdx=0 rIdx=3 oIdx=0 buffer=0 iui=0
_ds_load_u16 v[vgprValuB_X0_I0+0], v[vgprLocalReadAddrB] offset:0 // L -> Reg lro=0 swapByteOffset=0 ti=64 vIdx=0 rIdx=0 oIdx=0 buffer=0 iui=0
_ds_load_u16_d16_hi v153, v[vgprLocalReadAddrB] offset:384 // L -> Reg lro=0 swapByteOffset=0 ti=64 vIdx=0 rIdx=1 oIdx=0 buffer=0 iui=0
v_mfma_f32_32x32x8bf16_1k v[48+0:63+0], v[vgprValuB_X1_I0+2+0+0:vgprValuB_X1_I0+2+0+0+1], v[vgprValuA_X1_I0+2+0+0:vgprValuA_X1_I0+2+0+0+1], v[48:63]
/*  mfmaIndex:21  */
_ds_load_u16 v[vgprValuB_X0_I0+1], v[vgprLocalReadAddrB] offset:768 // L -> Reg lro=0 swapByteOffset=0 ti=64 vIdx=0 rIdx=2 oIdx=0 buffer=0 iui=0
_ds_load_u16_d16_hi v154, v[vgprLocalReadAddrB] offset:1152 // L -> Reg lro=0 swapByteOffset=0 ti=64 vIdx=0 rIdx=3 oIdx=0 buffer=0 iui=0
_ds_load_u16 v[vgprValuA_X0_I0+2], v[vgprLocalReadAddrA] offset:128 // L -> Reg lro=0 swapByteOffset=0 ti=64 vIdx=1 rIdx=0 oIdx=0 buffer=0 iui=0
_ds_load_u16_d16_hi v151, v[vgprLocalReadAddrA] offset:384 // L -> Reg lro=0 swapByteOffset=0 ti=64 vIdx=1 rIdx=1 oIdx=0 buffer=0 iui=0
_ds_load_u16 v[vgprValuA_X0_I0+3], v[vgprLocalReadAddrA] offset:640 // L -> Reg lro=0 swapByteOffset=0 ti=64 vIdx=1 rIdx=2 oIdx=0 buffer=0 iui=0
_ds_load_u16_d16_hi v152, v[vgprLocalReadAddrA] offset:896 // L -> Reg lro=0 swapByteOffset=0 ti=64 vIdx=1 rIdx=3 oIdx=0 buffer=0 iui=0
v_mfma_f32_32x32x8bf16_1k v[32+0:47+0], v[vgprValuB_X1_I0+2+0+0:vgprValuB_X1_I0+2+0+0+1], v[vgprValuA_X1_I0+0+0+0:vgprValuA_X1_I0+0+0+0+1], v[32:47]
/*  mfmaIndex:22  */
_ds_load_u16 v[vgprValuB_X0_I0+2], v[vgprLocalReadAddrB] offset:128 // L -> Reg lro=0 swapByteOffset=0 ti=64 vIdx=1 rIdx=0 oIdx=0 buffer=0 iui=0
_ds_load_u16_d16_hi v155, v[vgprLocalReadAddrB] offset:512 // L -> Reg lro=0 swapByteOffset=0 ti=64 vIdx=1 rIdx=1 oIdx=0 buffer=0 iui=0
_ds_load_u16 v[vgprValuB_X0_I0+3], v[vgprLocalReadAddrB] offset:896 // L -> Reg lro=0 swapByteOffset=0 ti=64 vIdx=1 rIdx=2 oIdx=0 buffer=0 iui=0
_ds_load_u16_d16_hi v156, v[vgprLocalReadAddrB] offset:1280 // L -> Reg lro=0 swapByteOffset=0 ti=64 vIdx=1 rIdx=3 oIdx=0 buffer=0 iui=0
	;; [unrolled: 2-line block ×3, first 2 shown]
v_mfma_f32_32x32x8bf16_1k v[64+0:79+0], v[vgprValuB_X1_I0+4+0+0:vgprValuB_X1_I0+4+0+0+1], v[vgprValuA_X1_I0+0+0+0:vgprValuA_X1_I0+0+0+0+1], v[64:79]
/*  mfmaIndex:23  */
_ds_load_u16 v[vgprValuB_X0_I0+5], v[vgprLocalReadAddrB] offset:1024 // L -> Reg lro=0 swapByteOffset=0 ti=64 vIdx=2 rIdx=2 oIdx=0 buffer=0 iui=0
_ds_load_u16_d16_hi v158, v[vgprLocalReadAddrB] offset:1408 // L -> Reg lro=0 swapByteOffset=0 ti=64 vIdx=2 rIdx=3 oIdx=0 buffer=0 iui=0
v_mfma_f32_32x32x8bf16_1k v[80+0:95+0], v[vgprValuB_X1_I0+4+0+0:vgprValuB_X1_I0+4+0+0+1], v[vgprValuA_X1_I0+2+0+0:vgprValuA_X1_I0+2+0+0+1], v[80:95]
/* numPrefetchIter=1 */
/* dataAtIterA=2 numReadsIterA=3 skipReadsIterA=1 readsPerIterA=8 */
/* dataAtIterB=2 numReadsIterB=3 skipReadsIterB=1 readsPerIterB=12 */


/******************************************/
/* Unrolled Loop - End 2/2 (final)        */
/******************************************/


/* closeLoop loopL finalLoop=1 tailLoop=0 */
s_sub_u32 s[sgprLoopCounterL], s[sgprLoopCounterL], 1 // dec counterL
s_cmp_eq_i32 s[sgprLoopCounterL], 0x2              // counterL==2
s_cbranch_scc0 LoopBeginL_1                        // restart LoopL
LoopEndL_evenexit_4: // unroll loop eveniter exit
v_xor_b32 v[vgprLocalWriteAddrA+0], 0x8000, v[vgprLocalWriteAddrA+0] // swap Red Blk
v_xor_b32 v[vgprLocalWriteAddrB+0], 0x8000, v[vgprLocalWriteAddrB+0] // swap Red Blk

/* (EPS=1) local write swap internal offset -> 0 */

/* (EPS=1) local write swap internal offset -> 0 */
s_branch LoopEndL_2                                // exit unroll loopL (and skip second exit code)
LoopEndL_oddexit_3: // unroll loop odditer exit

/* Select high bank of LDS */
v_xor_b32 v[vgprLocalReadAddrA], 0x8000, v[vgprLocalReadAddrA] // swap Red Blk
v_xor_b32 v[vgprLocalReadAddrB], 0x8000, v[vgprLocalReadAddrB] // swap Red Blk
LoopEndL_2:


/* Before NLL: Check VGPR.checkin for INT8 LW */


/******************************************/
/* Ord. NoGlobalLoadLoop - Begin                                      */
/******************************************/



/* iter 0 */

/*  grEndMfmaIndex:2, lwStartMfmaIndex:4, lwEndMfmaIndex:18  */
/*  numMfmaForLR:4, barrierMfmaIndex:19, LocalWritePerMfma:0.295 */
/*  mfmaIndex:0  */
s_waitcnt lgkmcnt(0)                               // lgkmcnt=0 vmcnt=-1wait for prior local read local write old=0, new=0 newLW=0 newLR=0
/* pack scheduling: packAIdx:2, packBIdx:2 */
v_or_b32 v[vgprValuA_X0_I0+0], v[vgprValuA_X0_I0+0], v149 // pack two half Vgpr to one Vgpr
v_or_b32 v[vgprValuA_X0_I0+1], v[vgprValuA_X0_I0+1], v150 // pack two half Vgpr to one Vgpr
v_or_b32 v[vgprValuB_X0_I0+0], v[vgprValuB_X0_I0+0], v153 // pack two half Vgpr to one Vgpr
v_or_b32 v[vgprValuB_X0_I0+1], v[vgprValuB_X0_I0+1], v154 // pack two half Vgpr to one Vgpr
v_or_b32 v[vgprValuA_X0_I0+2], v[vgprValuA_X0_I0+2], v151 // pack two half Vgpr to one Vgpr
v_or_b32 v[vgprValuA_X0_I0+3], v[vgprValuA_X0_I0+3], v152 // pack two half Vgpr to one Vgpr
v_mfma_f32_32x32x8bf16_1k v[0+0:15+0], v[vgprValuB_X0_I0+0+0+0:vgprValuB_X0_I0+0+0+0+1], v[vgprValuA_X0_I0+0+0+0:vgprValuA_X0_I0+0+0+0+1], v[0:15]
/*  mfmaIndex:1  */
_ds_load_u16 v[vgprValuA_X1_I0+0], v[vgprLocalReadAddrA] offset:2048 // L -> Reg lro=1024 swapByteOffset=0 ti=64 vIdx=0 rIdx=0 oIdx=0 buffer=1 iui=0
_ds_load_u16_d16_hi v159, v[vgprLocalReadAddrA] offset:2304 // L -> Reg lro=1024 swapByteOffset=0 ti=64 vIdx=0 rIdx=1 oIdx=0 buffer=1 iui=0
_ds_load_u16 v[vgprValuA_X1_I0+1], v[vgprLocalReadAddrA] offset:2560 // L -> Reg lro=1024 swapByteOffset=0 ti=64 vIdx=0 rIdx=2 oIdx=0 buffer=1 iui=0
_ds_load_u16_d16_hi v160, v[vgprLocalReadAddrA] offset:2816 // L -> Reg lro=1024 swapByteOffset=0 ti=64 vIdx=0 rIdx=3 oIdx=0 buffer=1 iui=0
_ds_load_u16 v[vgprValuB_X1_I0+0], v[vgprLocalReadAddrB] offset:3072 // L -> Reg lro=1536 swapByteOffset=0 ti=64 vIdx=0 rIdx=0 oIdx=0 buffer=1 iui=0
_ds_load_u16_d16_hi v163, v[vgprLocalReadAddrB] offset:3456 // L -> Reg lro=1536 swapByteOffset=0 ti=64 vIdx=0 rIdx=1 oIdx=0 buffer=1 iui=0

/* global read inc A loopL */
s_add_u32 s[sgprSrdA+0], s[sgprSrdA+0], s[sgprGlobalReadIncsA+0] // gra SRD += inc(lower)
s_addc_u32  s[sgprSrdA+1], s[sgprSrdA+1], 0        // gra SRD += inc(upper)
s_sub_u32 s[sgprShadowLimitA+0], s[sgprShadowLimitA+0], s[sgprGlobalReadIncsA+0] // limit -= inc)
s_subb_u32 s[sgprShadowLimitA+1], s[sgprShadowLimitA+1], 0 // limit -= inc)
s_cmp_eq_u32 s[sgprShadowLimitA+1], 0              // are we within 2^32?
s_cmov_b32 s[sgprSrdA+2], s[sgprShadowLimitA+0]    // Move shadow to real if we are within 2^32

/* global read inc B loopL */
s_add_u32 s[sgprSrdB+0], s[sgprSrdB+0], s[sgprGlobalReadIncsB+0] // gra SRD += inc(lower)
/* pack scheduling: packAIdx:4, packBIdx:2 */
v_or_b32 v[vgprValuB_X0_I0+2], v[vgprValuB_X0_I0+2], v155 // pack two half Vgpr to one Vgpr
v_or_b32 v[vgprValuB_X0_I0+3], v[vgprValuB_X0_I0+3], v156 // pack two half Vgpr to one Vgpr
	;; [unrolled: 1-line block ×4, first 2 shown]
v_mfma_f32_32x32x8bf16_1k v[16+0:31+0], v[vgprValuB_X0_I0+0+0+0:vgprValuB_X0_I0+0+0+0+1], v[vgprValuA_X0_I0+2+0+0:vgprValuA_X0_I0+2+0+0+1], v[16:31]
/*  mfmaIndex:2  */
_ds_load_u16 v[vgprValuB_X1_I0+1], v[vgprLocalReadAddrB] offset:3840 // L -> Reg lro=1536 swapByteOffset=0 ti=64 vIdx=0 rIdx=2 oIdx=0 buffer=1 iui=0
_ds_load_u16_d16_hi v164, v[vgprLocalReadAddrB] offset:4224 // L -> Reg lro=1536 swapByteOffset=0 ti=64 vIdx=0 rIdx=3 oIdx=0 buffer=1 iui=0
_ds_load_u16 v[vgprValuA_X1_I0+2], v[vgprLocalReadAddrA] offset:2176 // L -> Reg lro=1024 swapByteOffset=0 ti=64 vIdx=1 rIdx=0 oIdx=0 buffer=1 iui=0
_ds_load_u16_d16_hi v161, v[vgprLocalReadAddrA] offset:2432 // L -> Reg lro=1024 swapByteOffset=0 ti=64 vIdx=1 rIdx=1 oIdx=0 buffer=1 iui=0
_ds_load_u16 v[vgprValuA_X1_I0+3], v[vgprLocalReadAddrA] offset:2688 // L -> Reg lro=1024 swapByteOffset=0 ti=64 vIdx=1 rIdx=2 oIdx=0 buffer=1 iui=0
_ds_load_u16_d16_hi v162, v[vgprLocalReadAddrA] offset:2944 // L -> Reg lro=1024 swapByteOffset=0 ti=64 vIdx=1 rIdx=3 oIdx=0 buffer=1 iui=0
s_addc_u32  s[sgprSrdB+1], s[sgprSrdB+1], 0        // gra SRD += inc(upper)
s_sub_u32 s[sgprShadowLimitB+0], s[sgprShadowLimitB+0], s[sgprGlobalReadIncsB+0] // limit -= inc)
s_subb_u32 s[sgprShadowLimitB+1], s[sgprShadowLimitB+1], 0 // limit -= inc)
s_cmp_eq_u32 s[sgprShadowLimitB+1], 0              // are we within 2^32?
s_cmov_b32 s[sgprSrdB+2], s[sgprShadowLimitB+0]    // Move shadow to real if we are within 2^32
v_mfma_f32_32x32x8bf16_1k v[48+0:63+0], v[vgprValuB_X0_I0+2+0+0:vgprValuB_X0_I0+2+0+0+1], v[vgprValuA_X0_I0+2+0+0:vgprValuA_X0_I0+2+0+0+1], v[48:63]
/*  mfmaIndex:3  */
_ds_load_u16 v[vgprValuB_X1_I0+2], v[vgprLocalReadAddrB] offset:3200 // L -> Reg lro=1536 swapByteOffset=0 ti=64 vIdx=1 rIdx=0 oIdx=0 buffer=1 iui=0
_ds_load_u16_d16_hi v165, v[vgprLocalReadAddrB] offset:3584 // L -> Reg lro=1536 swapByteOffset=0 ti=64 vIdx=1 rIdx=1 oIdx=0 buffer=1 iui=0
_ds_load_u16 v[vgprValuB_X1_I0+3], v[vgprLocalReadAddrB] offset:3968 // L -> Reg lro=1536 swapByteOffset=0 ti=64 vIdx=1 rIdx=2 oIdx=0 buffer=1 iui=0
_ds_load_u16_d16_hi v166, v[vgprLocalReadAddrB] offset:4352 // L -> Reg lro=1536 swapByteOffset=0 ti=64 vIdx=1 rIdx=3 oIdx=0 buffer=1 iui=0
	;; [unrolled: 2-line block ×3, first 2 shown]
v_mfma_f32_32x32x8bf16_1k v[32+0:47+0], v[vgprValuB_X0_I0+2+0+0:vgprValuB_X0_I0+2+0+0+1], v[vgprValuA_X0_I0+0+0+0:vgprValuA_X0_I0+0+0+0+1], v[32:47]
/*  mfmaIndex:4  */
_ds_load_u16 v[vgprValuB_X1_I0+5], v[vgprLocalReadAddrB] offset:4096 // L -> Reg lro=1536 swapByteOffset=0 ti=64 vIdx=2 rIdx=2 oIdx=0 buffer=1 iui=0
_ds_load_u16_d16_hi v168, v[vgprLocalReadAddrB] offset:4480 // L -> Reg lro=1536 swapByteOffset=0 ti=64 vIdx=2 rIdx=3 oIdx=0 buffer=1 iui=0
/* sched write - iter 0 writesPerItem=1 */
s_waitcnt vmcnt(0)                                 // lgkmcnt=-1 vmcnt=0wait for global read before writing to local
v_cvt_f32_f16 v[vgprG2Lpipe0], v[vgprG2LA+0]       // 
v_cvt_f32_f16 v[vgprG2Lpipe1], v[vgprG2LA+0], src0_sel:WORD_1 // 
v_pack_b32_f16 v[vgprG2LA+0], v[vgprG2Lpipe0], v[vgprG2Lpipe1], op_sel:[1,1,0] // 
v_cvt_f32_f16 v[vgprG2Lpipe0], v[vgprG2LA+1]       // 
v_cvt_f32_f16 v[vgprG2Lpipe1], v[vgprG2LA+1], src0_sel:WORD_1 // 
v_pack_b32_f16 v[vgprG2LA+1], v[vgprG2Lpipe0], v[vgprG2Lpipe1], op_sel:[1,1,0] // 
	;; [unrolled: 3-line block ×4, first 2 shown]
_ds_store_b128 v[vgprLocalWriteAddrA], v[vgprG2LA+0:vgprG2LA+0+3] offset:0 // lwoA_0_0_0_0 = (0*LSCA) + (0*LSPA)(*MT0I+PAD) = 0
v_mfma_f32_32x32x8bf16_1k v[64+0:79+0], v[vgprValuB_X0_I0+4+0+0:vgprValuB_X0_I0+4+0+0+1], v[vgprValuA_X0_I0+0+0+0:vgprValuA_X0_I0+0+0+0+1], v[64:79]
/*  mfmaIndex:5  */
/* localReadsVacancy: latencyLeft 13 */
v_mfma_f32_32x32x8bf16_1k v[80+0:95+0], v[vgprValuB_X0_I0+4+0+0:vgprValuB_X0_I0+4+0+0+1], v[vgprValuA_X0_I0+2+0+0:vgprValuA_X0_I0+2+0+0+1], v[80:95]
/* numPrefetchIter=0 */
/* dataAtIterA=-1 numReadsIterA=1 skipReadsIterA=1 readsPerIterA=8 */
/* dataAtIterB=-1 numReadsIterB=1 skipReadsIterB=1 readsPerIterB=12 */


/* iter 1 */

/*  grEndMfmaIndex:2, lwStartMfmaIndex:4, lwEndMfmaIndex:18  */
/*  numMfmaForLR:4, barrierMfmaIndex:19, LocalWritePerMfma:0.295 */
/*  mfmaIndex:6  */
_ds_load_u16 v[vgprValuA_X0_I0+0], v[vgprLocalReadAddrA] offset:4096 // L -> Reg lro=2048 swapByteOffset=0 ti=64 vIdx=0 rIdx=0 oIdx=0 buffer=0 iui=0
_ds_load_u16_d16_hi v149, v[vgprLocalReadAddrA] offset:4352 // L -> Reg lro=2048 swapByteOffset=0 ti=64 vIdx=0 rIdx=1 oIdx=0 buffer=0 iui=0
_ds_load_u16 v[vgprValuA_X0_I0+1], v[vgprLocalReadAddrA] offset:4608 // L -> Reg lro=2048 swapByteOffset=0 ti=64 vIdx=0 rIdx=2 oIdx=0 buffer=0 iui=0
_ds_load_u16_d16_hi v150, v[vgprLocalReadAddrA] offset:4864 // L -> Reg lro=2048 swapByteOffset=0 ti=64 vIdx=0 rIdx=3 oIdx=0 buffer=0 iui=0
_ds_load_u16 v[vgprValuB_X0_I0+0], v[vgprLocalReadAddrB] offset:6144 // L -> Reg lro=3072 swapByteOffset=0 ti=64 vIdx=0 rIdx=0 oIdx=0 buffer=0 iui=0
_ds_load_u16_d16_hi v153, v[vgprLocalReadAddrB] offset:6528 // L -> Reg lro=3072 swapByteOffset=0 ti=64 vIdx=0 rIdx=1 oIdx=0 buffer=0 iui=0
s_waitcnt lgkmcnt(7)                               // lgkmcnt=0 vmcnt=-1wait for prior local read local write old=0, new=7 newLW=1 newLR=6
/* pack scheduling: packAIdx:2, packBIdx:2 */
v_or_b32 v[vgprValuA_X1_I0+0], v[vgprValuA_X1_I0+0], v159 // pack two half Vgpr to one Vgpr
v_or_b32 v[vgprValuA_X1_I0+1], v[vgprValuA_X1_I0+1], v160 // pack two half Vgpr to one Vgpr
v_or_b32 v[vgprValuB_X1_I0+0], v[vgprValuB_X1_I0+0], v163 // pack two half Vgpr to one Vgpr
v_or_b32 v[vgprValuB_X1_I0+1], v[vgprValuB_X1_I0+1], v164 // pack two half Vgpr to one Vgpr
v_or_b32 v[vgprValuA_X1_I0+2], v[vgprValuA_X1_I0+2], v161 // pack two half Vgpr to one Vgpr
v_or_b32 v[vgprValuA_X1_I0+3], v[vgprValuA_X1_I0+3], v162 // pack two half Vgpr to one Vgpr
v_mfma_f32_32x32x8bf16_1k v[0+0:15+0], v[vgprValuB_X1_I0+0+0+0:vgprValuB_X1_I0+0+0+0+1], v[vgprValuA_X1_I0+0+0+0:vgprValuA_X1_I0+0+0+0+1], v[0:15]
/*  mfmaIndex:7  */
_ds_load_u16 v[vgprValuB_X0_I0+1], v[vgprLocalReadAddrB] offset:6912 // L -> Reg lro=3072 swapByteOffset=0 ti=64 vIdx=0 rIdx=2 oIdx=0 buffer=0 iui=0
_ds_load_u16_d16_hi v154, v[vgprLocalReadAddrB] offset:7296 // L -> Reg lro=3072 swapByteOffset=0 ti=64 vIdx=0 rIdx=3 oIdx=0 buffer=0 iui=0
_ds_load_u16 v[vgprValuA_X0_I0+2], v[vgprLocalReadAddrA] offset:4224 // L -> Reg lro=2048 swapByteOffset=0 ti=64 vIdx=1 rIdx=0 oIdx=0 buffer=0 iui=0
_ds_load_u16_d16_hi v151, v[vgprLocalReadAddrA] offset:4480 // L -> Reg lro=2048 swapByteOffset=0 ti=64 vIdx=1 rIdx=1 oIdx=0 buffer=0 iui=0
/* sched write - iter 1 writesPerItem=1 */
s_waitcnt vmcnt(0)                                 // lgkmcnt=-1 vmcnt=0wait for global read before writing to local
v_cvt_f32_f16 v[vgprG2Lpipe0], v[vgprG2LA+4]       // 
v_cvt_f32_f16 v[vgprG2Lpipe1], v[vgprG2LA+4], src0_sel:WORD_1 // 
v_pack_b32_f16 v[vgprG2LA+4], v[vgprG2Lpipe0], v[vgprG2Lpipe1], op_sel:[1,1,0] // 
v_cvt_f32_f16 v[vgprG2Lpipe0], v[vgprG2LA+5]       // 
v_cvt_f32_f16 v[vgprG2Lpipe1], v[vgprG2LA+5], src0_sel:WORD_1 // 
v_pack_b32_f16 v[vgprG2LA+5], v[vgprG2Lpipe0], v[vgprG2Lpipe1], op_sel:[1,1,0] // 
	;; [unrolled: 3-line block ×4, first 2 shown]
_ds_store_b128 v[vgprLocalWriteAddrA], v[vgprG2LA+4:vgprG2LA+4+3] offset:1024 // lwoA_0_0_1_0 = (0*LSCA) + (1*LSPA)(*MT0I+PAD) = 1024
/* pack scheduling: packAIdx:4, packBIdx:2 */
v_or_b32 v[vgprValuB_X1_I0+2], v[vgprValuB_X1_I0+2], v165 // pack two half Vgpr to one Vgpr
v_or_b32 v[vgprValuB_X1_I0+3], v[vgprValuB_X1_I0+3], v166 // pack two half Vgpr to one Vgpr
	;; [unrolled: 1-line block ×4, first 2 shown]
v_mfma_f32_32x32x8bf16_1k v[16+0:31+0], v[vgprValuB_X1_I0+0+0+0:vgprValuB_X1_I0+0+0+0+1], v[vgprValuA_X1_I0+2+0+0:vgprValuA_X1_I0+2+0+0+1], v[16:31]
/*  mfmaIndex:8  */
_ds_load_u16 v[vgprValuA_X0_I0+3], v[vgprLocalReadAddrA] offset:4736 // L -> Reg lro=2048 swapByteOffset=0 ti=64 vIdx=1 rIdx=2 oIdx=0 buffer=0 iui=0
_ds_load_u16_d16_hi v152, v[vgprLocalReadAddrA] offset:4992 // L -> Reg lro=2048 swapByteOffset=0 ti=64 vIdx=1 rIdx=3 oIdx=0 buffer=0 iui=0
_ds_load_u16 v[vgprValuB_X0_I0+2], v[vgprLocalReadAddrB] offset:6272 // L -> Reg lro=3072 swapByteOffset=0 ti=64 vIdx=1 rIdx=0 oIdx=0 buffer=0 iui=0
_ds_load_u16_d16_hi v155, v[vgprLocalReadAddrB] offset:6656 // L -> Reg lro=3072 swapByteOffset=0 ti=64 vIdx=1 rIdx=1 oIdx=0 buffer=0 iui=0
_ds_load_u16 v[vgprValuB_X0_I0+3], v[vgprLocalReadAddrB] offset:7040 // L -> Reg lro=3072 swapByteOffset=0 ti=64 vIdx=1 rIdx=2 oIdx=0 buffer=0 iui=0
_ds_load_u16_d16_hi v156, v[vgprLocalReadAddrB] offset:7424 // L -> Reg lro=3072 swapByteOffset=0 ti=64 vIdx=1 rIdx=3 oIdx=0 buffer=0 iui=0
v_mfma_f32_32x32x8bf16_1k v[48+0:63+0], v[vgprValuB_X1_I0+2+0+0:vgprValuB_X1_I0+2+0+0+1], v[vgprValuA_X1_I0+2+0+0:vgprValuA_X1_I0+2+0+0+1], v[48:63]
/*  mfmaIndex:9  */
_ds_load_u16 v[vgprValuB_X0_I0+4], v[vgprLocalReadAddrB] offset:6400 // L -> Reg lro=3072 swapByteOffset=0 ti=64 vIdx=2 rIdx=0 oIdx=0 buffer=0 iui=0
_ds_load_u16_d16_hi v157, v[vgprLocalReadAddrB] offset:6784 // L -> Reg lro=3072 swapByteOffset=0 ti=64 vIdx=2 rIdx=1 oIdx=0 buffer=0 iui=0
_ds_load_u16 v[vgprValuB_X0_I0+5], v[vgprLocalReadAddrB] offset:7168 // L -> Reg lro=3072 swapByteOffset=0 ti=64 vIdx=2 rIdx=2 oIdx=0 buffer=0 iui=0
_ds_load_u16_d16_hi v158, v[vgprLocalReadAddrB] offset:7552 // L -> Reg lro=3072 swapByteOffset=0 ti=64 vIdx=2 rIdx=3 oIdx=0 buffer=0 iui=0
/* localReadsVacancy: latencyLeft 5 */
v_mfma_f32_32x32x8bf16_1k v[32+0:47+0], v[vgprValuB_X1_I0+2+0+0:vgprValuB_X1_I0+2+0+0+1], v[vgprValuA_X1_I0+0+0+0:vgprValuA_X1_I0+0+0+0+1], v[32:47]
/*  mfmaIndex:10  */
/* localReadsVacancy: latencyLeft 3 */
/* sched write - iter 1 writesPerItem=1 */
s_waitcnt vmcnt(0)                                 // lgkmcnt=-1 vmcnt=0wait for global read before writing to local
v_cvt_f32_f16 v[vgprG2Lpipe0], v[vgprG2LB+0]       // 
v_cvt_f32_f16 v[vgprG2Lpipe1], v[vgprG2LB+0], src0_sel:WORD_1 // 
v_pack_b32_f16 v[vgprG2LB+0], v[vgprG2Lpipe0], v[vgprG2Lpipe1], op_sel:[1,1,0] // 
v_cvt_f32_f16 v[vgprG2Lpipe0], v[vgprG2LB+1]       // 
v_cvt_f32_f16 v[vgprG2Lpipe1], v[vgprG2LB+1], src0_sel:WORD_1 // 
v_pack_b32_f16 v[vgprG2LB+1], v[vgprG2Lpipe0], v[vgprG2Lpipe1], op_sel:[1,1,0] // 
v_cvt_f32_f16 v[vgprG2Lpipe0], v[vgprG2LB+2]       // 
v_cvt_f32_f16 v[vgprG2Lpipe1], v[vgprG2LB+2], src0_sel:WORD_1 // 
v_pack_b32_f16 v[vgprG2LB+2], v[vgprG2Lpipe0], v[vgprG2Lpipe1], op_sel:[1,1,0] // 
v_cvt_f32_f16 v[vgprG2Lpipe0], v[vgprG2LB+3]       // 
v_cvt_f32_f16 v[vgprG2Lpipe1], v[vgprG2LB+3], src0_sel:WORD_1 // 
v_pack_b32_f16 v[vgprG2LB+3], v[vgprG2Lpipe0], v[vgprG2Lpipe1], op_sel:[1,1,0] // 
_ds_store_b128 v[vgprLocalWriteAddrB], v[vgprG2LB+0:vgprG2LB+0+3] offset:0 // lwoB_0_0_0_0 = (0*LSCB) + (0*LSPB)(*MT1J+PAD) = 0
v_mfma_f32_32x32x8bf16_1k v[64+0:79+0], v[vgprValuB_X1_I0+4+0+0:vgprValuB_X1_I0+4+0+0+1], v[vgprValuA_X1_I0+0+0+0:vgprValuA_X1_I0+0+0+0+1], v[64:79]
/*  mfmaIndex:11  */
/* localReadsVacancy: latencyLeft 13 */
v_mfma_f32_32x32x8bf16_1k v[80+0:95+0], v[vgprValuB_X1_I0+4+0+0:vgprValuB_X1_I0+4+0+0+1], v[vgprValuA_X1_I0+2+0+0:vgprValuA_X1_I0+2+0+0+1], v[80:95]
/* numPrefetchIter=0 */
/* dataAtIterA=0 numReadsIterA=2 skipReadsIterA=1 readsPerIterA=8 */
/* dataAtIterB=0 numReadsIterB=2 skipReadsIterB=1 readsPerIterB=12 */


/* iter 2 (reset local read pointers iteration)  (swap local read pointers iteration)  */

/*  grEndMfmaIndex:2, lwStartMfmaIndex:4, lwEndMfmaIndex:18  */
/*  numMfmaForLR:4, barrierMfmaIndex:19, LocalWritePerMfma:0.295 */
/*  mfmaIndex:12  */
_ds_load_u16 v[vgprValuA_X1_I0+0], v[vgprLocalReadAddrA] offset:6144 // L -> Reg lro=3072 swapByteOffset=0 ti=64 vIdx=0 rIdx=0 oIdx=0 buffer=1 iui=0
_ds_load_u16_d16_hi v159, v[vgprLocalReadAddrA] offset:6400 // L -> Reg lro=3072 swapByteOffset=0 ti=64 vIdx=0 rIdx=1 oIdx=0 buffer=1 iui=0
_ds_load_u16 v[vgprValuA_X1_I0+1], v[vgprLocalReadAddrA] offset:6656 // L -> Reg lro=3072 swapByteOffset=0 ti=64 vIdx=0 rIdx=2 oIdx=0 buffer=1 iui=0
_ds_load_u16_d16_hi v160, v[vgprLocalReadAddrA] offset:6912 // L -> Reg lro=3072 swapByteOffset=0 ti=64 vIdx=0 rIdx=3 oIdx=0 buffer=1 iui=0
_ds_load_u16 v[vgprValuB_X1_I0+0], v[vgprLocalReadAddrB] offset:9216 // L -> Reg lro=4608 swapByteOffset=0 ti=64 vIdx=0 rIdx=0 oIdx=0 buffer=1 iui=0
_ds_load_u16_d16_hi v163, v[vgprLocalReadAddrB] offset:9600 // L -> Reg lro=4608 swapByteOffset=0 ti=64 vIdx=0 rIdx=1 oIdx=0 buffer=1 iui=0
s_waitcnt lgkmcnt(7)                               // lgkmcnt=0 vmcnt=-1wait for prior local read local write old=0, new=7 newLW=1 newLR=6
/* pack scheduling: packAIdx:2, packBIdx:2 */
v_or_b32 v[vgprValuA_X0_I0+0], v[vgprValuA_X0_I0+0], v149 // pack two half Vgpr to one Vgpr
v_or_b32 v[vgprValuA_X0_I0+1], v[vgprValuA_X0_I0+1], v150 // pack two half Vgpr to one Vgpr
v_or_b32 v[vgprValuB_X0_I0+0], v[vgprValuB_X0_I0+0], v153 // pack two half Vgpr to one Vgpr
v_or_b32 v[vgprValuB_X0_I0+1], v[vgprValuB_X0_I0+1], v154 // pack two half Vgpr to one Vgpr
v_or_b32 v[vgprValuA_X0_I0+2], v[vgprValuA_X0_I0+2], v151 // pack two half Vgpr to one Vgpr
v_or_b32 v[vgprValuA_X0_I0+3], v[vgprValuA_X0_I0+3], v152 // pack two half Vgpr to one Vgpr
v_mfma_f32_32x32x8bf16_1k v[0+0:15+0], v[vgprValuB_X0_I0+0+0+0:vgprValuB_X0_I0+0+0+0+1], v[vgprValuA_X0_I0+0+0+0:vgprValuA_X0_I0+0+0+0+1], v[0:15]
/*  mfmaIndex:13  */
_ds_load_u16 v[vgprValuB_X1_I0+1], v[vgprLocalReadAddrB] offset:9984 // L -> Reg lro=4608 swapByteOffset=0 ti=64 vIdx=0 rIdx=2 oIdx=0 buffer=1 iui=0
_ds_load_u16_d16_hi v164, v[vgprLocalReadAddrB] offset:10368 // L -> Reg lro=4608 swapByteOffset=0 ti=64 vIdx=0 rIdx=3 oIdx=0 buffer=1 iui=0
_ds_load_u16 v[vgprValuA_X1_I0+2], v[vgprLocalReadAddrA] offset:6272 // L -> Reg lro=3072 swapByteOffset=0 ti=64 vIdx=1 rIdx=0 oIdx=0 buffer=1 iui=0
_ds_load_u16_d16_hi v161, v[vgprLocalReadAddrA] offset:6528 // L -> Reg lro=3072 swapByteOffset=0 ti=64 vIdx=1 rIdx=1 oIdx=0 buffer=1 iui=0
_ds_load_u16 v[vgprValuA_X1_I0+3], v[vgprLocalReadAddrA] offset:6784 // L -> Reg lro=3072 swapByteOffset=0 ti=64 vIdx=1 rIdx=2 oIdx=0 buffer=1 iui=0
_ds_load_u16_d16_hi v162, v[vgprLocalReadAddrA] offset:7040 // L -> Reg lro=3072 swapByteOffset=0 ti=64 vIdx=1 rIdx=3 oIdx=0 buffer=1 iui=0
/* pack scheduling: packAIdx:4, packBIdx:2 */
v_or_b32 v[vgprValuB_X0_I0+2], v[vgprValuB_X0_I0+2], v155 // pack two half Vgpr to one Vgpr
v_or_b32 v[vgprValuB_X0_I0+3], v[vgprValuB_X0_I0+3], v156 // pack two half Vgpr to one Vgpr
v_or_b32 v[vgprValuB_X0_I0+4], v[vgprValuB_X0_I0+4], v157 // pack two half Vgpr to one Vgpr
v_or_b32 v[vgprValuB_X0_I0+5], v[vgprValuB_X0_I0+5], v158 // pack two half Vgpr to one Vgpr
v_mfma_f32_32x32x8bf16_1k v[16+0:31+0], v[vgprValuB_X0_I0+0+0+0:vgprValuB_X0_I0+0+0+0+1], v[vgprValuA_X0_I0+2+0+0:vgprValuA_X0_I0+2+0+0+1], v[16:31]
/*  mfmaIndex:14  */
_ds_load_u16 v[vgprValuB_X1_I0+2], v[vgprLocalReadAddrB] offset:9344 // L -> Reg lro=4608 swapByteOffset=0 ti=64 vIdx=1 rIdx=0 oIdx=0 buffer=1 iui=0
_ds_load_u16_d16_hi v165, v[vgprLocalReadAddrB] offset:9728 // L -> Reg lro=4608 swapByteOffset=0 ti=64 vIdx=1 rIdx=1 oIdx=0 buffer=1 iui=0
_ds_load_u16 v[vgprValuB_X1_I0+3], v[vgprLocalReadAddrB] offset:10112 // L -> Reg lro=4608 swapByteOffset=0 ti=64 vIdx=1 rIdx=2 oIdx=0 buffer=1 iui=0
/* sched write - iter 2 writesPerItem=1 */
s_waitcnt vmcnt(0)                                 // lgkmcnt=-1 vmcnt=0wait for global read before writing to local
v_cvt_f32_f16 v[vgprG2Lpipe0], v[vgprG2LB+4]       // 
v_cvt_f32_f16 v[vgprG2Lpipe1], v[vgprG2LB+4], src0_sel:WORD_1 // 
v_pack_b32_f16 v[vgprG2LB+4], v[vgprG2Lpipe0], v[vgprG2Lpipe1], op_sel:[1,1,0] // 
v_cvt_f32_f16 v[vgprG2Lpipe0], v[vgprG2LB+5]       // 
v_cvt_f32_f16 v[vgprG2Lpipe1], v[vgprG2LB+5], src0_sel:WORD_1 // 
v_pack_b32_f16 v[vgprG2LB+5], v[vgprG2Lpipe0], v[vgprG2Lpipe1], op_sel:[1,1,0] // 
	;; [unrolled: 3-line block ×4, first 2 shown]
_ds_store_b128 v[vgprLocalWriteAddrB], v[vgprG2LB+4:vgprG2LB+4+3] offset:128 // lwoB_1_0_0_0 = (1*LSCB) + (0*LSPB)(*MT1J+PAD) = 128
v_mfma_f32_32x32x8bf16_1k v[48+0:63+0], v[vgprValuB_X0_I0+2+0+0:vgprValuB_X0_I0+2+0+0+1], v[vgprValuA_X0_I0+2+0+0:vgprValuA_X0_I0+2+0+0+1], v[48:63]
/*  mfmaIndex:15  */
_ds_load_u16_d16_hi v166, v[vgprLocalReadAddrB] offset:10496 // L -> Reg lro=4608 swapByteOffset=0 ti=64 vIdx=1 rIdx=3 oIdx=0 buffer=1 iui=0
_ds_load_u16 v[vgprValuB_X1_I0+4], v[vgprLocalReadAddrB] offset:9472 // L -> Reg lro=4608 swapByteOffset=0 ti=64 vIdx=2 rIdx=0 oIdx=0 buffer=1 iui=0
_ds_load_u16_d16_hi v167, v[vgprLocalReadAddrB] offset:9856 // L -> Reg lro=4608 swapByteOffset=0 ti=64 vIdx=2 rIdx=1 oIdx=0 buffer=1 iui=0
_ds_load_u16 v[vgprValuB_X1_I0+5], v[vgprLocalReadAddrB] offset:10240 // L -> Reg lro=4608 swapByteOffset=0 ti=64 vIdx=2 rIdx=2 oIdx=0 buffer=1 iui=0
_ds_load_u16_d16_hi v168, v[vgprLocalReadAddrB] offset:10624 // L -> Reg lro=4608 swapByteOffset=0 ti=64 vIdx=2 rIdx=3 oIdx=0 buffer=1 iui=0
/* localReadsVacancy: latencyLeft 3 */
v_mfma_f32_32x32x8bf16_1k v[32+0:47+0], v[vgprValuB_X0_I0+2+0+0:vgprValuB_X0_I0+2+0+0+1], v[vgprValuA_X0_I0+0+0+0:vgprValuA_X0_I0+0+0+0+1], v[32:47]
/*  mfmaIndex:16  */
/* localReadsVacancy: latencyLeft 13 */
v_mfma_f32_32x32x8bf16_1k v[64+0:79+0], v[vgprValuB_X0_I0+4+0+0:vgprValuB_X0_I0+4+0+0+1], v[vgprValuA_X0_I0+0+0+0:vgprValuA_X0_I0+0+0+0+1], v[64:79]
/*  mfmaIndex:17  */
/* localReadsVacancy: latencyLeft 3 */
/* sched write - iter 2 writesPerItem=1 */
s_waitcnt vmcnt(0)                                 // lgkmcnt=-1 vmcnt=0wait for global read before writing to local
v_cvt_f32_f16 v[vgprG2Lpipe0], v[vgprG2LB+8]       // 
v_cvt_f32_f16 v[vgprG2Lpipe1], v[vgprG2LB+8], src0_sel:WORD_1 // 
v_pack_b32_f16 v[vgprG2LB+8], v[vgprG2Lpipe0], v[vgprG2Lpipe1], op_sel:[1,1,0] // 
v_cvt_f32_f16 v[vgprG2Lpipe0], v[vgprG2LB+9]       // 
v_cvt_f32_f16 v[vgprG2Lpipe1], v[vgprG2LB+9], src0_sel:WORD_1 // 
v_pack_b32_f16 v[vgprG2LB+9], v[vgprG2Lpipe0], v[vgprG2Lpipe1], op_sel:[1,1,0] // 
v_cvt_f32_f16 v[vgprG2Lpipe0], v[vgprG2LB+10]      // 
v_cvt_f32_f16 v[vgprG2Lpipe1], v[vgprG2LB+10], src0_sel:WORD_1 // 
v_pack_b32_f16 v[vgprG2LB+10], v[vgprG2Lpipe0], v[vgprG2Lpipe1], op_sel:[1,1,0] // 
v_cvt_f32_f16 v[vgprG2Lpipe0], v[vgprG2LB+11]      // 
v_cvt_f32_f16 v[vgprG2Lpipe1], v[vgprG2LB+11], src0_sel:WORD_1 // 
v_pack_b32_f16 v[vgprG2LB+11], v[vgprG2Lpipe0], v[vgprG2Lpipe1], op_sel:[1,1,0] // 
_ds_store_b128 v[vgprLocalWriteAddrB], v[vgprG2LB+8:vgprG2LB+8+3] offset:256 // lwoB_2_0_0_0 = (2*LSCB) + (0*LSPB)(*MT1J+PAD) = 256

/* local read swap offsets a */
v_xor_b32 v[vgprLocalReadAddrA], 0x8000, v[vgprLocalReadAddrA] // swap Red Blk

/* local read swap offsets b */
v_xor_b32 v[vgprLocalReadAddrB], 0x8000, v[vgprLocalReadAddrB] // swap Red Blk

/* local read init pointers a */

/* localReadInitPointers */

/* local read init pointers b */

/* localReadInitPointers */
v_mfma_f32_32x32x8bf16_1k v[80+0:95+0], v[vgprValuB_X0_I0+4+0+0:vgprValuB_X0_I0+4+0+0+1], v[vgprValuA_X0_I0+2+0+0:vgprValuA_X0_I0+2+0+0+1], v[80:95]
/* numPrefetchIter=0 */
/* dataAtIterA=1 numReadsIterA=3 skipReadsIterA=1 readsPerIterA=8 */
/* dataAtIterB=1 numReadsIterB=3 skipReadsIterB=1 readsPerIterB=12 */


/* iter 3 (swap and reset local write pointers iteration)  */

/*  grEndMfmaIndex:2, lwStartMfmaIndex:4, lwEndMfmaIndex:18  */
/*  numMfmaForLR:4, barrierMfmaIndex:19, LocalWritePerMfma:0.295 */
/*  mfmaIndex:18  */

/* local write swap offsets a */

/* (EPS=1) local write swap internal offset -> 32768 */

/* local write swap offsets b */

/* (EPS=1) local write swap internal offset -> 32768 */
s_waitcnt lgkmcnt(1)                               // lgkmcnt=0 vmcnt=-1wait for prior local read local write old=0, new=1 newLW=1 newLR=0
/* pack scheduling: packAIdx:2, packBIdx:2 */
v_or_b32 v[vgprValuA_X1_I0+0], v[vgprValuA_X1_I0+0], v159 // pack two half Vgpr to one Vgpr
v_or_b32 v[vgprValuA_X1_I0+1], v[vgprValuA_X1_I0+1], v160 // pack two half Vgpr to one Vgpr
v_or_b32 v[vgprValuB_X1_I0+0], v[vgprValuB_X1_I0+0], v163 // pack two half Vgpr to one Vgpr
v_or_b32 v[vgprValuB_X1_I0+1], v[vgprValuB_X1_I0+1], v164 // pack two half Vgpr to one Vgpr
v_or_b32 v[vgprValuA_X1_I0+2], v[vgprValuA_X1_I0+2], v161 // pack two half Vgpr to one Vgpr
v_or_b32 v[vgprValuA_X1_I0+3], v[vgprValuA_X1_I0+3], v162 // pack two half Vgpr to one Vgpr
v_mfma_f32_32x32x8bf16_1k v[0+0:15+0], v[vgprValuB_X1_I0+0+0+0:vgprValuB_X1_I0+0+0+0+1], v[vgprValuA_X1_I0+0+0+0:vgprValuA_X1_I0+0+0+0+1], v[0:15]
/*  mfmaIndex:19  */
s_waitcnt lgkmcnt(0)                               // lgkmcnt=0 vmcnt=-13wait for local write
// Skip force waitcnt0
s_barrier //
/* pack scheduling: packAIdx:4, packBIdx:2 */
v_or_b32 v[vgprValuB_X1_I0+2], v[vgprValuB_X1_I0+2], v165 // pack two half Vgpr to one Vgpr
v_or_b32 v[vgprValuB_X1_I0+3], v[vgprValuB_X1_I0+3], v166 // pack two half Vgpr to one Vgpr
	;; [unrolled: 1-line block ×4, first 2 shown]
v_mfma_f32_32x32x8bf16_1k v[16+0:31+0], v[vgprValuB_X1_I0+0+0+0:vgprValuB_X1_I0+0+0+0+1], v[vgprValuA_X1_I0+2+0+0:vgprValuA_X1_I0+2+0+0+1], v[16:31]
/*  mfmaIndex:20  */
_ds_load_u16 v[vgprValuA_X0_I0+0], v[vgprLocalReadAddrA] offset:0 // L -> Reg lro=0 swapByteOffset=0 ti=64 vIdx=0 rIdx=0 oIdx=0 buffer=0 iui=0
_ds_load_u16_d16_hi v149, v[vgprLocalReadAddrA] offset:256 // L -> Reg lro=0 swapByteOffset=0 ti=64 vIdx=0 rIdx=1 oIdx=0 buffer=0 iui=0
_ds_load_u16 v[vgprValuA_X0_I0+1], v[vgprLocalReadAddrA] offset:512 // L -> Reg lro=0 swapByteOffset=0 ti=64 vIdx=0 rIdx=2 oIdx=0 buffer=0 iui=0
_ds_load_u16_d16_hi v150, v[vgprLocalReadAddrA] offset:768 // L -> Reg lro=0 swapByteOffset=0 ti=64 vIdx=0 rIdx=3 oIdx=0 buffer=0 iui=0
_ds_load_u16 v[vgprValuB_X0_I0+0], v[vgprLocalReadAddrB] offset:0 // L -> Reg lro=0 swapByteOffset=0 ti=64 vIdx=0 rIdx=0 oIdx=0 buffer=0 iui=0
_ds_load_u16_d16_hi v153, v[vgprLocalReadAddrB] offset:384 // L -> Reg lro=0 swapByteOffset=0 ti=64 vIdx=0 rIdx=1 oIdx=0 buffer=0 iui=0
v_mfma_f32_32x32x8bf16_1k v[48+0:63+0], v[vgprValuB_X1_I0+2+0+0:vgprValuB_X1_I0+2+0+0+1], v[vgprValuA_X1_I0+2+0+0:vgprValuA_X1_I0+2+0+0+1], v[48:63]
/*  mfmaIndex:21  */
_ds_load_u16 v[vgprValuB_X0_I0+1], v[vgprLocalReadAddrB] offset:768 // L -> Reg lro=0 swapByteOffset=0 ti=64 vIdx=0 rIdx=2 oIdx=0 buffer=0 iui=0
_ds_load_u16_d16_hi v154, v[vgprLocalReadAddrB] offset:1152 // L -> Reg lro=0 swapByteOffset=0 ti=64 vIdx=0 rIdx=3 oIdx=0 buffer=0 iui=0
_ds_load_u16 v[vgprValuA_X0_I0+2], v[vgprLocalReadAddrA] offset:128 // L -> Reg lro=0 swapByteOffset=0 ti=64 vIdx=1 rIdx=0 oIdx=0 buffer=0 iui=0
_ds_load_u16_d16_hi v151, v[vgprLocalReadAddrA] offset:384 // L -> Reg lro=0 swapByteOffset=0 ti=64 vIdx=1 rIdx=1 oIdx=0 buffer=0 iui=0
_ds_load_u16 v[vgprValuA_X0_I0+3], v[vgprLocalReadAddrA] offset:640 // L -> Reg lro=0 swapByteOffset=0 ti=64 vIdx=1 rIdx=2 oIdx=0 buffer=0 iui=0
_ds_load_u16_d16_hi v152, v[vgprLocalReadAddrA] offset:896 // L -> Reg lro=0 swapByteOffset=0 ti=64 vIdx=1 rIdx=3 oIdx=0 buffer=0 iui=0
v_mfma_f32_32x32x8bf16_1k v[32+0:47+0], v[vgprValuB_X1_I0+2+0+0:vgprValuB_X1_I0+2+0+0+1], v[vgprValuA_X1_I0+0+0+0:vgprValuA_X1_I0+0+0+0+1], v[32:47]
/*  mfmaIndex:22  */
_ds_load_u16 v[vgprValuB_X0_I0+2], v[vgprLocalReadAddrB] offset:128 // L -> Reg lro=0 swapByteOffset=0 ti=64 vIdx=1 rIdx=0 oIdx=0 buffer=0 iui=0
_ds_load_u16_d16_hi v155, v[vgprLocalReadAddrB] offset:512 // L -> Reg lro=0 swapByteOffset=0 ti=64 vIdx=1 rIdx=1 oIdx=0 buffer=0 iui=0
_ds_load_u16 v[vgprValuB_X0_I0+3], v[vgprLocalReadAddrB] offset:896 // L -> Reg lro=0 swapByteOffset=0 ti=64 vIdx=1 rIdx=2 oIdx=0 buffer=0 iui=0
_ds_load_u16_d16_hi v156, v[vgprLocalReadAddrB] offset:1280 // L -> Reg lro=0 swapByteOffset=0 ti=64 vIdx=1 rIdx=3 oIdx=0 buffer=0 iui=0
	;; [unrolled: 2-line block ×3, first 2 shown]
v_mfma_f32_32x32x8bf16_1k v[64+0:79+0], v[vgprValuB_X1_I0+4+0+0:vgprValuB_X1_I0+4+0+0+1], v[vgprValuA_X1_I0+0+0+0:vgprValuA_X1_I0+0+0+0+1], v[64:79]
/*  mfmaIndex:23  */
_ds_load_u16 v[vgprValuB_X0_I0+5], v[vgprLocalReadAddrB] offset:1024 // L -> Reg lro=0 swapByteOffset=0 ti=64 vIdx=2 rIdx=2 oIdx=0 buffer=0 iui=0
_ds_load_u16_d16_hi v158, v[vgprLocalReadAddrB] offset:1408 // L -> Reg lro=0 swapByteOffset=0 ti=64 vIdx=2 rIdx=3 oIdx=0 buffer=0 iui=0
v_mfma_f32_32x32x8bf16_1k v[80+0:95+0], v[vgprValuB_X1_I0+4+0+0:vgprValuB_X1_I0+4+0+0+1], v[vgprValuA_X1_I0+2+0+0:vgprValuA_X1_I0+2+0+0+1], v[80:95]
/* numPrefetchIter=1 */
/* dataAtIterA=2 numReadsIterA=3 skipReadsIterA=1 readsPerIterA=8 */
/* dataAtIterB=2 numReadsIterB=3 skipReadsIterB=1 readsPerIterB=12 */

label_0014:


/******************************************/
/* Opt. NoLoadLoop Without PAP - Begin                                      */
/******************************************/

s_cmpk_eq_u32 s[sgprBeta], 0x0                     // Beta == 0
s_cbranch_scc0 OptNLL_End_17                       // Branch if Beta is not zero

s_cmp_eq_u32 s[sgprAlpha], 1.0                     // Alpha == 1.0 ?
s_cbranch_scc0 OptNLL_End_17                       // branch if alpha != 1

s_and_b32 s32, 127, s[sgprSizeI]                   // s32 = s[sgprSizeI] % 128
s_add_u32 s33, -0x1, s[sgprNumWorkGroups0]         // 
s_cmp_ge_u32 s[sgprWorkGroup0], s33                // wg0 >= nwg0-1 ?
s_cselect_b32 s32, s32, 0                          // set rMT0
s_cmpk_gt_u32 s32, 0x0                             // rMT0 > 0
s_cbranch_scc1 OptNLL_End_17                       // jump if edges required
s_mov_b32 s35, 0x0                                 // STATIC_DIV: divisior=192
s_mul_i32 s34, 0x2aa, s[sgprSizeJ]                 // tmp1 = dividend * magic hi
s_lshl_b64 s[34:35], s[34:35], 0x10                // left shift 16 bits
s_mul_i32 s33, s[sgprSizeJ], 0xaaab                // tmp0 = dividend * magic lo
s_add_u32 s34, s33, s34                            // add lo
s_addc_u32 s35, s35, 0x0                           // add hi
s_lshr_b64 s[34:35], s[34:35], 0x21                // tmp1 = (dividend * magic) << shift
s_mov_b32 s33, s34                                 // quotient
s_mul_i32 s34, s33, 0xc0                           // quotient*divisor
s_sub_u32 s32, s[sgprSizeJ], s34                   // rReg = dividend - quotient*divisor
s_add_u32 s33, -0x1, s[sgprNumWorkGroups1]         // 
s_cmp_ge_u32 s[sgprWorkGroup1], s33                // wg1 >= nwg1-1
s_cselect_b32 s32, s32, 0                          // set rMT1
s_cmpk_gt_u32 s32, 0x0                             // rMT1 > 0
s_cbranch_scc1 OptNLL_End_17                       // jump if edges required

s_and_b32 s33, 31, s[sgprSizesSum+0]               // s33 = s[sgprSizesSum+0] % 32
s_cmp_eq_u32 s33, 0x0                              // numIterL == 0
s_cbranch_scc0 OptNLL_End_17                       // skip if tail loop required


	;; [unrolled: 1-line block ×3, first 2 shown]
/* iter 0 (last unrolled loop) */

/*  grEndMfmaIndex:0, lwStartMfmaIndex:18, lwEndMfmaIndex:18  */
/*  numMfmaForLR:4, barrierMfmaIndex:19, LocalWritePerMfma:0.295 */
/*  mfmaIndex:0  */
s_waitcnt lgkmcnt(0)                               // lgkmcnt=0 vmcnt=-1wait for prior local read local write old=0, new=0 newLW=0 newLR=0
/* pack scheduling: packAIdx:2, packBIdx:2 */
v_or_b32 v[vgprValuA_X0_I0+0], v[vgprValuA_X0_I0+0], v149 // pack two half Vgpr to one Vgpr
v_or_b32 v[vgprValuA_X0_I0+1], v[vgprValuA_X0_I0+1], v150 // pack two half Vgpr to one Vgpr
v_or_b32 v[vgprValuB_X0_I0+0], v[vgprValuB_X0_I0+0], v153 // pack two half Vgpr to one Vgpr
v_or_b32 v[vgprValuB_X0_I0+1], v[vgprValuB_X0_I0+1], v154 // pack two half Vgpr to one Vgpr
v_or_b32 v[vgprValuA_X0_I0+2], v[vgprValuA_X0_I0+2], v151 // pack two half Vgpr to one Vgpr
v_or_b32 v[vgprValuA_X0_I0+3], v[vgprValuA_X0_I0+3], v152 // pack two half Vgpr to one Vgpr
v_mfma_f32_32x32x8bf16_1k v[0+0:15+0], v[vgprValuB_X0_I0+0+0+0:vgprValuB_X0_I0+0+0+0+1], v[vgprValuA_X0_I0+0+0+0:vgprValuA_X0_I0+0+0+0+1], v[0:15]
/*  mfmaIndex:1  */
_ds_load_u16 v[vgprValuA_X1_I0+0], v[vgprLocalReadAddrA] offset:2048 // L -> Reg lro=1024 swapByteOffset=0 ti=64 vIdx=0 rIdx=0 oIdx=0 buffer=1 iui=0
_ds_load_u16_d16_hi v159, v[vgprLocalReadAddrA] offset:2304 // L -> Reg lro=1024 swapByteOffset=0 ti=64 vIdx=0 rIdx=1 oIdx=0 buffer=1 iui=0
_ds_load_u16 v[vgprValuA_X1_I0+1], v[vgprLocalReadAddrA] offset:2560 // L -> Reg lro=1024 swapByteOffset=0 ti=64 vIdx=0 rIdx=2 oIdx=0 buffer=1 iui=0
_ds_load_u16_d16_hi v160, v[vgprLocalReadAddrA] offset:2816 // L -> Reg lro=1024 swapByteOffset=0 ti=64 vIdx=0 rIdx=3 oIdx=0 buffer=1 iui=0
_ds_load_u16 v[vgprValuB_X1_I0+0], v[vgprLocalReadAddrB] offset:3072 // L -> Reg lro=1536 swapByteOffset=0 ti=64 vIdx=0 rIdx=0 oIdx=0 buffer=1 iui=0
_ds_load_u16_d16_hi v163, v[vgprLocalReadAddrB] offset:3456 // L -> Reg lro=1536 swapByteOffset=0 ti=64 vIdx=0 rIdx=1 oIdx=0 buffer=1 iui=0
/* pack scheduling: packAIdx:4, packBIdx:2 */
v_or_b32 v[vgprValuB_X0_I0+2], v[vgprValuB_X0_I0+2], v155 // pack two half Vgpr to one Vgpr
v_or_b32 v[vgprValuB_X0_I0+3], v[vgprValuB_X0_I0+3], v156 // pack two half Vgpr to one Vgpr
	;; [unrolled: 1-line block ×4, first 2 shown]
v_mfma_f32_32x32x8bf16_1k v[16+0:31+0], v[vgprValuB_X0_I0+0+0+0:vgprValuB_X0_I0+0+0+0+1], v[vgprValuA_X0_I0+2+0+0:vgprValuA_X0_I0+2+0+0+1], v[16:31]
/*  mfmaIndex:2  */
_ds_load_u16 v[vgprValuB_X1_I0+1], v[vgprLocalReadAddrB] offset:3840 // L -> Reg lro=1536 swapByteOffset=0 ti=64 vIdx=0 rIdx=2 oIdx=0 buffer=1 iui=0
_ds_load_u16_d16_hi v164, v[vgprLocalReadAddrB] offset:4224 // L -> Reg lro=1536 swapByteOffset=0 ti=64 vIdx=0 rIdx=3 oIdx=0 buffer=1 iui=0
_ds_load_u16 v[vgprValuA_X1_I0+2], v[vgprLocalReadAddrA] offset:2176 // L -> Reg lro=1024 swapByteOffset=0 ti=64 vIdx=1 rIdx=0 oIdx=0 buffer=1 iui=0
_ds_load_u16_d16_hi v161, v[vgprLocalReadAddrA] offset:2432 // L -> Reg lro=1024 swapByteOffset=0 ti=64 vIdx=1 rIdx=1 oIdx=0 buffer=1 iui=0
_ds_load_u16 v[vgprValuA_X1_I0+3], v[vgprLocalReadAddrA] offset:2688 // L -> Reg lro=1024 swapByteOffset=0 ti=64 vIdx=1 rIdx=2 oIdx=0 buffer=1 iui=0
_ds_load_u16_d16_hi v162, v[vgprLocalReadAddrA] offset:2944 // L -> Reg lro=1024 swapByteOffset=0 ti=64 vIdx=1 rIdx=3 oIdx=0 buffer=1 iui=0
v_mfma_f32_32x32x8bf16_1k v[48+0:63+0], v[vgprValuB_X0_I0+2+0+0:vgprValuB_X0_I0+2+0+0+1], v[vgprValuA_X0_I0+2+0+0:vgprValuA_X0_I0+2+0+0+1], v[48:63]
/*  mfmaIndex:3  */
_ds_load_u16 v[vgprValuB_X1_I0+2], v[vgprLocalReadAddrB] offset:3200 // L -> Reg lro=1536 swapByteOffset=0 ti=64 vIdx=1 rIdx=0 oIdx=0 buffer=1 iui=0
_ds_load_u16_d16_hi v165, v[vgprLocalReadAddrB] offset:3584 // L -> Reg lro=1536 swapByteOffset=0 ti=64 vIdx=1 rIdx=1 oIdx=0 buffer=1 iui=0
_ds_load_u16 v[vgprValuB_X1_I0+3], v[vgprLocalReadAddrB] offset:3968 // L -> Reg lro=1536 swapByteOffset=0 ti=64 vIdx=1 rIdx=2 oIdx=0 buffer=1 iui=0
_ds_load_u16_d16_hi v166, v[vgprLocalReadAddrB] offset:4352 // L -> Reg lro=1536 swapByteOffset=0 ti=64 vIdx=1 rIdx=3 oIdx=0 buffer=1 iui=0
	;; [unrolled: 2-line block ×3, first 2 shown]
v_mfma_f32_32x32x8bf16_1k v[32+0:47+0], v[vgprValuB_X0_I0+2+0+0:vgprValuB_X0_I0+2+0+0+1], v[vgprValuA_X0_I0+0+0+0:vgprValuA_X0_I0+0+0+0+1], v[32:47]
/*  mfmaIndex:4  */
_ds_load_u16 v[vgprValuB_X1_I0+5], v[vgprLocalReadAddrB] offset:4096 // L -> Reg lro=1536 swapByteOffset=0 ti=64 vIdx=2 rIdx=2 oIdx=0 buffer=1 iui=0
_ds_load_u16_d16_hi v168, v[vgprLocalReadAddrB] offset:4480 // L -> Reg lro=1536 swapByteOffset=0 ti=64 vIdx=2 rIdx=3 oIdx=0 buffer=1 iui=0
/* localReadsVacancy: latencyLeft 9 */
v_mfma_f32_32x32x8bf16_1k v[64+0:79+0], v[vgprValuB_X0_I0+4+0+0:vgprValuB_X0_I0+4+0+0+1], v[vgprValuA_X0_I0+0+0+0:vgprValuA_X0_I0+0+0+0+1], v[64:79]
/*  mfmaIndex:5  */
/* localReadsVacancy: latencyLeft 13 */
v_mfma_f32_32x32x8bf16_1k v[80+0:95+0], v[vgprValuB_X0_I0+4+0+0:vgprValuB_X0_I0+4+0+0+1], v[vgprValuA_X0_I0+2+0+0:vgprValuA_X0_I0+2+0+0+1], v[80:95]
/* numPrefetchIter=0 */
/* dataAtIterA=-1 numReadsIterA=1 skipReadsIterA=1 readsPerIterA=8 */
/* dataAtIterB=-1 numReadsIterB=1 skipReadsIterB=1 readsPerIterB=12 */


/* iter 1 (last unrolled loop) */

/*  grEndMfmaIndex:0, lwStartMfmaIndex:18, lwEndMfmaIndex:18  */
/*  numMfmaForLR:4, barrierMfmaIndex:19, LocalWritePerMfma:0.295 */
/*  mfmaIndex:6  */
_ds_load_u16 v[vgprValuA_X0_I0+0], v[vgprLocalReadAddrA] offset:4096 // L -> Reg lro=2048 swapByteOffset=0 ti=64 vIdx=0 rIdx=0 oIdx=0 buffer=0 iui=0
_ds_load_u16_d16_hi v149, v[vgprLocalReadAddrA] offset:4352 // L -> Reg lro=2048 swapByteOffset=0 ti=64 vIdx=0 rIdx=1 oIdx=0 buffer=0 iui=0
_ds_load_u16 v[vgprValuA_X0_I0+1], v[vgprLocalReadAddrA] offset:4608 // L -> Reg lro=2048 swapByteOffset=0 ti=64 vIdx=0 rIdx=2 oIdx=0 buffer=0 iui=0
_ds_load_u16_d16_hi v150, v[vgprLocalReadAddrA] offset:4864 // L -> Reg lro=2048 swapByteOffset=0 ti=64 vIdx=0 rIdx=3 oIdx=0 buffer=0 iui=0
_ds_load_u16 v[vgprValuB_X0_I0+0], v[vgprLocalReadAddrB] offset:6144 // L -> Reg lro=3072 swapByteOffset=0 ti=64 vIdx=0 rIdx=0 oIdx=0 buffer=0 iui=0
_ds_load_u16_d16_hi v153, v[vgprLocalReadAddrB] offset:6528 // L -> Reg lro=3072 swapByteOffset=0 ti=64 vIdx=0 rIdx=1 oIdx=0 buffer=0 iui=0
s_waitcnt lgkmcnt(6)                               // lgkmcnt=0 vmcnt=-1wait for prior local read local write old=0, new=6 newLW=0 newLR=6
/* pack scheduling: packAIdx:2, packBIdx:2 */
v_or_b32 v[vgprValuA_X1_I0+0], v[vgprValuA_X1_I0+0], v159 // pack two half Vgpr to one Vgpr
v_or_b32 v[vgprValuA_X1_I0+1], v[vgprValuA_X1_I0+1], v160 // pack two half Vgpr to one Vgpr
v_or_b32 v[vgprValuB_X1_I0+0], v[vgprValuB_X1_I0+0], v163 // pack two half Vgpr to one Vgpr
v_or_b32 v[vgprValuB_X1_I0+1], v[vgprValuB_X1_I0+1], v164 // pack two half Vgpr to one Vgpr
v_or_b32 v[vgprValuA_X1_I0+2], v[vgprValuA_X1_I0+2], v161 // pack two half Vgpr to one Vgpr
v_or_b32 v[vgprValuA_X1_I0+3], v[vgprValuA_X1_I0+3], v162 // pack two half Vgpr to one Vgpr
v_mfma_f32_32x32x8bf16_1k v[0+0:15+0], v[vgprValuB_X1_I0+0+0+0:vgprValuB_X1_I0+0+0+0+1], v[vgprValuA_X1_I0+0+0+0:vgprValuA_X1_I0+0+0+0+1], v[0:15]
/*  mfmaIndex:7  */
_ds_load_u16 v[vgprValuB_X0_I0+1], v[vgprLocalReadAddrB] offset:6912 // L -> Reg lro=3072 swapByteOffset=0 ti=64 vIdx=0 rIdx=2 oIdx=0 buffer=0 iui=0
_ds_load_u16_d16_hi v154, v[vgprLocalReadAddrB] offset:7296 // L -> Reg lro=3072 swapByteOffset=0 ti=64 vIdx=0 rIdx=3 oIdx=0 buffer=0 iui=0
_ds_load_u16 v[vgprValuA_X0_I0+2], v[vgprLocalReadAddrA] offset:4224 // L -> Reg lro=2048 swapByteOffset=0 ti=64 vIdx=1 rIdx=0 oIdx=0 buffer=0 iui=0
_ds_load_u16_d16_hi v151, v[vgprLocalReadAddrA] offset:4480 // L -> Reg lro=2048 swapByteOffset=0 ti=64 vIdx=1 rIdx=1 oIdx=0 buffer=0 iui=0
_ds_load_u16 v[vgprValuA_X0_I0+3], v[vgprLocalReadAddrA] offset:4736 // L -> Reg lro=2048 swapByteOffset=0 ti=64 vIdx=1 rIdx=2 oIdx=0 buffer=0 iui=0
_ds_load_u16_d16_hi v152, v[vgprLocalReadAddrA] offset:4992 // L -> Reg lro=2048 swapByteOffset=0 ti=64 vIdx=1 rIdx=3 oIdx=0 buffer=0 iui=0
/* pack scheduling: packAIdx:4, packBIdx:2 */
v_or_b32 v[vgprValuB_X1_I0+2], v[vgprValuB_X1_I0+2], v165 // pack two half Vgpr to one Vgpr
v_or_b32 v[vgprValuB_X1_I0+3], v[vgprValuB_X1_I0+3], v166 // pack two half Vgpr to one Vgpr
	;; [unrolled: 1-line block ×4, first 2 shown]
v_mfma_f32_32x32x8bf16_1k v[16+0:31+0], v[vgprValuB_X1_I0+0+0+0:vgprValuB_X1_I0+0+0+0+1], v[vgprValuA_X1_I0+2+0+0:vgprValuA_X1_I0+2+0+0+1], v[16:31]
/*  mfmaIndex:8  */
_ds_load_u16 v[vgprValuB_X0_I0+2], v[vgprLocalReadAddrB] offset:6272 // L -> Reg lro=3072 swapByteOffset=0 ti=64 vIdx=1 rIdx=0 oIdx=0 buffer=0 iui=0
_ds_load_u16_d16_hi v155, v[vgprLocalReadAddrB] offset:6656 // L -> Reg lro=3072 swapByteOffset=0 ti=64 vIdx=1 rIdx=1 oIdx=0 buffer=0 iui=0
_ds_load_u16 v[vgprValuB_X0_I0+3], v[vgprLocalReadAddrB] offset:7040 // L -> Reg lro=3072 swapByteOffset=0 ti=64 vIdx=1 rIdx=2 oIdx=0 buffer=0 iui=0
_ds_load_u16_d16_hi v156, v[vgprLocalReadAddrB] offset:7424 // L -> Reg lro=3072 swapByteOffset=0 ti=64 vIdx=1 rIdx=3 oIdx=0 buffer=0 iui=0
	;; [unrolled: 2-line block ×3, first 2 shown]
v_mfma_f32_32x32x8bf16_1k v[48+0:63+0], v[vgprValuB_X1_I0+2+0+0:vgprValuB_X1_I0+2+0+0+1], v[vgprValuA_X1_I0+2+0+0:vgprValuA_X1_I0+2+0+0+1], v[48:63]
/*  mfmaIndex:9  */
_ds_load_u16 v[vgprValuB_X0_I0+5], v[vgprLocalReadAddrB] offset:7168 // L -> Reg lro=3072 swapByteOffset=0 ti=64 vIdx=2 rIdx=2 oIdx=0 buffer=0 iui=0
_ds_load_u16_d16_hi v158, v[vgprLocalReadAddrB] offset:7552 // L -> Reg lro=3072 swapByteOffset=0 ti=64 vIdx=2 rIdx=3 oIdx=0 buffer=0 iui=0
/* localReadsVacancy: latencyLeft 9 */
v_mfma_f32_32x32x8bf16_1k v[32+0:47+0], v[vgprValuB_X1_I0+2+0+0:vgprValuB_X1_I0+2+0+0+1], v[vgprValuA_X1_I0+0+0+0:vgprValuA_X1_I0+0+0+0+1], v[32:47]
/*  mfmaIndex:10  */
/* localReadsVacancy: latencyLeft 13 */
v_mfma_f32_32x32x8bf16_1k v[64+0:79+0], v[vgprValuB_X1_I0+4+0+0:vgprValuB_X1_I0+4+0+0+1], v[vgprValuA_X1_I0+0+0+0:vgprValuA_X1_I0+0+0+0+1], v[64:79]
/*  mfmaIndex:11  */
/* localReadsVacancy: latencyLeft 13 */
v_mfma_f32_32x32x8bf16_1k v[80+0:95+0], v[vgprValuB_X1_I0+4+0+0:vgprValuB_X1_I0+4+0+0+1], v[vgprValuA_X1_I0+2+0+0:vgprValuA_X1_I0+2+0+0+1], v[80:95]
/* numPrefetchIter=0 */
/* dataAtIterA=0 numReadsIterA=2 skipReadsIterA=1 readsPerIterA=8 */
/* dataAtIterB=0 numReadsIterB=2 skipReadsIterB=1 readsPerIterB=12 */


/* iter 2 (last unrolled loop) */

/*  grEndMfmaIndex:0, lwStartMfmaIndex:18, lwEndMfmaIndex:18  */
/*  numMfmaForLR:4, barrierMfmaIndex:19, LocalWritePerMfma:0.295 */
/*  mfmaIndex:12  */
_ds_load_u16 v[vgprValuA_X1_I0+0], v[vgprLocalReadAddrA] offset:6144 // L -> Reg lro=3072 swapByteOffset=0 ti=64 vIdx=0 rIdx=0 oIdx=0 buffer=1 iui=0
_ds_load_u16_d16_hi v159, v[vgprLocalReadAddrA] offset:6400 // L -> Reg lro=3072 swapByteOffset=0 ti=64 vIdx=0 rIdx=1 oIdx=0 buffer=1 iui=0
_ds_load_u16 v[vgprValuA_X1_I0+1], v[vgprLocalReadAddrA] offset:6656 // L -> Reg lro=3072 swapByteOffset=0 ti=64 vIdx=0 rIdx=2 oIdx=0 buffer=1 iui=0
_ds_load_u16_d16_hi v160, v[vgprLocalReadAddrA] offset:6912 // L -> Reg lro=3072 swapByteOffset=0 ti=64 vIdx=0 rIdx=3 oIdx=0 buffer=1 iui=0
_ds_load_u16 v[vgprValuB_X1_I0+0], v[vgprLocalReadAddrB] offset:9216 // L -> Reg lro=4608 swapByteOffset=0 ti=64 vIdx=0 rIdx=0 oIdx=0 buffer=1 iui=0
_ds_load_u16_d16_hi v163, v[vgprLocalReadAddrB] offset:9600 // L -> Reg lro=4608 swapByteOffset=0 ti=64 vIdx=0 rIdx=1 oIdx=0 buffer=1 iui=0
s_waitcnt lgkmcnt(6)                               // lgkmcnt=0 vmcnt=-1wait for prior local read local write old=0, new=6 newLW=0 newLR=6
/* pack scheduling: packAIdx:2, packBIdx:2 */
v_or_b32 v[vgprValuA_X0_I0+0], v[vgprValuA_X0_I0+0], v149 // pack two half Vgpr to one Vgpr
v_or_b32 v[vgprValuA_X0_I0+1], v[vgprValuA_X0_I0+1], v150 // pack two half Vgpr to one Vgpr
v_or_b32 v[vgprValuB_X0_I0+0], v[vgprValuB_X0_I0+0], v153 // pack two half Vgpr to one Vgpr
v_or_b32 v[vgprValuB_X0_I0+1], v[vgprValuB_X0_I0+1], v154 // pack two half Vgpr to one Vgpr
v_or_b32 v[vgprValuA_X0_I0+2], v[vgprValuA_X0_I0+2], v151 // pack two half Vgpr to one Vgpr
v_or_b32 v[vgprValuA_X0_I0+3], v[vgprValuA_X0_I0+3], v152 // pack two half Vgpr to one Vgpr
v_mfma_f32_32x32x8bf16_1k v[0+0:15+0], v[vgprValuB_X0_I0+0+0+0:vgprValuB_X0_I0+0+0+0+1], v[vgprValuA_X0_I0+0+0+0:vgprValuA_X0_I0+0+0+0+1], v[0:15]
/*  mfmaIndex:13  */
_ds_load_u16 v[vgprValuB_X1_I0+1], v[vgprLocalReadAddrB] offset:9984 // L -> Reg lro=4608 swapByteOffset=0 ti=64 vIdx=0 rIdx=2 oIdx=0 buffer=1 iui=0
_ds_load_u16_d16_hi v164, v[vgprLocalReadAddrB] offset:10368 // L -> Reg lro=4608 swapByteOffset=0 ti=64 vIdx=0 rIdx=3 oIdx=0 buffer=1 iui=0
_ds_load_u16 v[vgprValuA_X1_I0+2], v[vgprLocalReadAddrA] offset:6272 // L -> Reg lro=3072 swapByteOffset=0 ti=64 vIdx=1 rIdx=0 oIdx=0 buffer=1 iui=0
_ds_load_u16_d16_hi v161, v[vgprLocalReadAddrA] offset:6528 // L -> Reg lro=3072 swapByteOffset=0 ti=64 vIdx=1 rIdx=1 oIdx=0 buffer=1 iui=0
_ds_load_u16 v[vgprValuA_X1_I0+3], v[vgprLocalReadAddrA] offset:6784 // L -> Reg lro=3072 swapByteOffset=0 ti=64 vIdx=1 rIdx=2 oIdx=0 buffer=1 iui=0
_ds_load_u16_d16_hi v162, v[vgprLocalReadAddrA] offset:7040 // L -> Reg lro=3072 swapByteOffset=0 ti=64 vIdx=1 rIdx=3 oIdx=0 buffer=1 iui=0
/* pack scheduling: packAIdx:4, packBIdx:2 */
v_or_b32 v[vgprValuB_X0_I0+2], v[vgprValuB_X0_I0+2], v155 // pack two half Vgpr to one Vgpr
v_or_b32 v[vgprValuB_X0_I0+3], v[vgprValuB_X0_I0+3], v156 // pack two half Vgpr to one Vgpr
	;; [unrolled: 1-line block ×4, first 2 shown]
v_mfma_f32_32x32x8bf16_1k v[16+0:31+0], v[vgprValuB_X0_I0+0+0+0:vgprValuB_X0_I0+0+0+0+1], v[vgprValuA_X0_I0+2+0+0:vgprValuA_X0_I0+2+0+0+1], v[16:31]
/*  mfmaIndex:14  */
_ds_load_u16 v[vgprValuB_X1_I0+2], v[vgprLocalReadAddrB] offset:9344 // L -> Reg lro=4608 swapByteOffset=0 ti=64 vIdx=1 rIdx=0 oIdx=0 buffer=1 iui=0
_ds_load_u16_d16_hi v165, v[vgprLocalReadAddrB] offset:9728 // L -> Reg lro=4608 swapByteOffset=0 ti=64 vIdx=1 rIdx=1 oIdx=0 buffer=1 iui=0
_ds_load_u16 v[vgprValuB_X1_I0+3], v[vgprLocalReadAddrB] offset:10112 // L -> Reg lro=4608 swapByteOffset=0 ti=64 vIdx=1 rIdx=2 oIdx=0 buffer=1 iui=0
_ds_load_u16_d16_hi v166, v[vgprLocalReadAddrB] offset:10496 // L -> Reg lro=4608 swapByteOffset=0 ti=64 vIdx=1 rIdx=3 oIdx=0 buffer=1 iui=0
	;; [unrolled: 2-line block ×3, first 2 shown]
v_mfma_f32_32x32x8bf16_1k v[48+0:63+0], v[vgprValuB_X0_I0+2+0+0:vgprValuB_X0_I0+2+0+0+1], v[vgprValuA_X0_I0+2+0+0:vgprValuA_X0_I0+2+0+0+1], v[48:63]
/*  mfmaIndex:15  */
_ds_load_u16 v[vgprValuB_X1_I0+5], v[vgprLocalReadAddrB] offset:10240 // L -> Reg lro=4608 swapByteOffset=0 ti=64 vIdx=2 rIdx=2 oIdx=0 buffer=1 iui=0
_ds_load_u16_d16_hi v168, v[vgprLocalReadAddrB] offset:10624 // L -> Reg lro=4608 swapByteOffset=0 ti=64 vIdx=2 rIdx=3 oIdx=0 buffer=1 iui=0
/* localReadsVacancy: latencyLeft 9 */
v_mfma_f32_32x32x8bf16_1k v[32+0:47+0], v[vgprValuB_X0_I0+2+0+0:vgprValuB_X0_I0+2+0+0+1], v[vgprValuA_X0_I0+0+0+0:vgprValuA_X0_I0+0+0+0+1], v[32:47]
/*  mfmaIndex:16  */
/* localReadsVacancy: latencyLeft 13 */
v_mfma_f32_32x32x8bf16_1k v[64+0:79+0], v[vgprValuB_X0_I0+4+0+0:vgprValuB_X0_I0+4+0+0+1], v[vgprValuA_X0_I0+0+0+0:vgprValuA_X0_I0+0+0+0+1], v[64:79]
/*  mfmaIndex:17  */
/* localReadsVacancy: latencyLeft 13 */
v_mfma_f32_32x32x8bf16_1k v[80+0:95+0], v[vgprValuB_X0_I0+4+0+0:vgprValuB_X0_I0+4+0+0+1], v[vgprValuA_X0_I0+2+0+0:vgprValuA_X0_I0+2+0+0+1], v[80:95]
/* numPrefetchIter=0 */
/* dataAtIterA=1 numReadsIterA=3 skipReadsIterA=1 readsPerIterA=8 */
/* dataAtIterB=1 numReadsIterB=3 skipReadsIterB=1 readsPerIterB=12 */


/* iter 3 (last unrolled loop) */

/*  grEndMfmaIndex:0, lwStartMfmaIndex:18, lwEndMfmaIndex:18  */
/*  numMfmaForLR:4, barrierMfmaIndex:19, LocalWritePerMfma:0.295 */
/*  mfmaIndex:18  */
s_waitcnt lgkmcnt(0)                               // lgkmcnt=0 vmcnt=-1wait for prior local read local write old=0, new=0 newLW=0 newLR=0
/* pack scheduling: packAIdx:2, packBIdx:2 */
v_or_b32 v[vgprValuA_X1_I0+0], v[vgprValuA_X1_I0+0], v159 // pack two half Vgpr to one Vgpr
v_or_b32 v[vgprValuA_X1_I0+1], v[vgprValuA_X1_I0+1], v160 // pack two half Vgpr to one Vgpr
v_or_b32 v[vgprValuB_X1_I0+0], v[vgprValuB_X1_I0+0], v163 // pack two half Vgpr to one Vgpr
v_or_b32 v[vgprValuB_X1_I0+1], v[vgprValuB_X1_I0+1], v164 // pack two half Vgpr to one Vgpr
v_or_b32 v[vgprValuA_X1_I0+2], v[vgprValuA_X1_I0+2], v161 // pack two half Vgpr to one Vgpr
v_or_b32 v[vgprValuA_X1_I0+3], v[vgprValuA_X1_I0+3], v162 // pack two half Vgpr to one Vgpr
v_mfma_f32_32x32x8bf16_1k v[0+0:15+0], v[vgprValuB_X1_I0+0+0+0:vgprValuB_X1_I0+0+0+0+1], v[vgprValuA_X1_I0+0+0+0:vgprValuA_X1_I0+0+0+0+1], v[0:15]
/*  mfmaIndex:19  */
/* pack scheduling: packAIdx:4, packBIdx:2 */
v_or_b32 v[vgprValuB_X1_I0+2], v[vgprValuB_X1_I0+2], v165 // pack two half Vgpr to one Vgpr
v_or_b32 v[vgprValuB_X1_I0+3], v[vgprValuB_X1_I0+3], v166 // pack two half Vgpr to one Vgpr
	;; [unrolled: 1-line block ×4, first 2 shown]
v_mfma_f32_32x32x8bf16_1k v[16+0:31+0], v[vgprValuB_X1_I0+0+0+0:vgprValuB_X1_I0+0+0+0+1], v[vgprValuA_X1_I0+2+0+0:vgprValuA_X1_I0+2+0+0+1], v[16:31]
/*  mfmaIndex:20  */
v_mfma_f32_32x32x8bf16_1k v[48+0:63+0], v[vgprValuB_X1_I0+2+0+0:vgprValuB_X1_I0+2+0+0+1], v[vgprValuA_X1_I0+2+0+0:vgprValuA_X1_I0+2+0+0+1], v[48:63]
/*  mfmaIndex:21  */
	;; [unrolled: 2-line block ×4, first 2 shown]
v_mfma_f32_32x32x8bf16_1k v[80+0:95+0], v[vgprValuB_X1_I0+4+0+0:vgprValuB_X1_I0+4+0+0+1], v[vgprValuA_X1_I0+2+0+0:vgprValuA_X1_I0+2+0+0+1], v[80:95]
/* numPrefetchIter=0 */
/* dataAtIterA=2 numReadsIterA=3 skipReadsIterA=0 readsPerIterA=8 */
/* dataAtIterB=2 numReadsIterB=3 skipReadsIterB=0 readsPerIterB=12 */

/* Stores for OptNLL */
Summation_End_OptNLL_18:
/* endSummation: add vgpr [96...144) to pool */
.set NumFullBlocks, UNDEF
.set WgmRemainder1, UNDEF
.set MagicNumberWgmRemainder1, UNDEF

/* Mapping of Acc register -> C Vgpr register */

/* Multiply MI out register with Alpha -> C Vgpr register */
/* computeStoreVgprs */
v_lshrrev_b32 v100, 6, v[vgprSerial]               // v100 = v[vgprSerial] / 64
v_and_b32 v97, 63, v[vgprSerial]                   // v97 = v[vgprSerial] % 64
v_lshrrev_b32 v97, 5, v97                          // v97 = v97 / 32
v_lshlrev_b32 v97, 0x2, v97                        // thread0 * continuous_output
v_lshrrev_b32 v101, 1, v100                        // v101 = v100 / 2
v_mul_lo_u32 v101, 0x20, v101                      // wave coordination offset 1
_v_add_lshl_u32 v97, v101, v97, 0                  // coordination 1 = vwb *(wave_id1 + tid1)
v_mul_lo_u32 v98, v97, s[sgprStrideC1J]            //  offset 1
v_mul_lo_u32 v99, v97, s[sgprStrideD1J]            //  offset 1
v_and_b32 v101, 1, v100                            // v101 = v100 % 2
v_mul_lo_u32 v101, 0x20, v101                      // wave coordination offset 0
v_and_b32 v96, 31, v[vgprSerial]                   // v96 = v[vgprSerial] % 32
_v_add_lshl_u32 v96, v101, v96, 0                  // coordination 0 = vwa *(wave_id0 + tid0)
s_mul_i32 s31, 128, s[sgprWorkGroup0]              // wgp0 * MT0
_v_add_u32 v96, s31, v96                           // coord 0 = (tid0/MI_m)*4 + waveG0*MIB_m + MT0*SG0
s_mul_i32 s31, 192, s[sgprWorkGroup1]              // wgp1 * MT1
_v_add_u32 v97, s31, v97                           // coord 1 = (tid0%MI_m) + waveG1*MIB_n + MT1*SG1
GW_B0_E0_21:

/* edge=0, allocate 2 sgpr. perBatchTmpS=2 perBatchMaskS=0 perElementMaskS=0 elementsPerBatch=146 */
/* optSingleColVgpr=1 optSharedColVgpr=0 optSGPRUsage=BufferLoad_Mask optSrdIncForRow=1 */

/******************************************/
/* Global Write Batch #0 (d1,d0,vc1,vc0) = */
/*    (0,0,0,0:vw1); (0,1,0,0:vw1); (0,0,1,0:vw1); (0,1,1,0:vw1); (0,0,2,0:vw1); (0,1,2,0:vw1); (0,0,3,0:vw1); (0,1,3,0:vw1); (1,0,0,0:vw1); (1,1,0,0:vw1); (1,0,1,0:vw1); (1,1,1,0:vw1); (1,0,2,0:vw1); (1,1,2,0:vw1); (1,0,3,0:vw1); (1,1,3,0:vw1); (2,0,0,0:vw1); (2,1,0,0:vw1); (2,0,1,0:vw1); (2,1,1,0:vw1); (2,0,2,0:vw1); (2,1,2,0:vw1); (2,0,3,0:vw1); (2,1,3,0:vw1); (3,0,0,0:vw1); (3,1,0,0:vw1); (3,0,1,0:vw1); (3,1,1,0:vw1); (3,0,2,0:vw1); (3,1,2,0:vw1); (3,0,3,0:vw1); (3,1,3,0:vw1); (4,0,0,0:vw1); (4,1,0,0:vw1); (4,0,1,0:vw1); (4,1,1,0:vw1); (4,0,2,0:vw1); (4,1,2,0:vw1); (4,0,3,0:vw1); (4,1,3,0:vw1); (5,0,0,0:vw1); (5,1,0,0:vw1); (5,0,1,0:vw1); (5,1,1,0:vw1); (5,0,2,0:vw1); (5,1,2,0:vw1); (5,0,3,0:vw1); (5,1,3,0:vw1); (6,0,0,0:vw1); (6,1,0,0:vw1); (6,0,1,0:vw1); (6,1,1,0:vw1); (6,0,2,0:vw1); (6,1,2,0:vw1); (6,0,3,0:vw1); (6,1,3,0:vw1); (7,0,0,0:vw1); (7,1,0,0:vw1); (7,0,1,0:vw1); (7,1,1,0:vw1); (7,0,2,0:vw1); (7,1,2,0:vw1); (7,0,3,0:vw1); (7,1,3,0:vw1); (8,0,0,0:vw1); (8,1,0,0:vw1); (8,0,1,0:vw1); (8,1,1,0:vw1); (8,0,2,0:vw1); (8,1,2,0:vw1); (8,0,3,0:vw1); (8,1,3,0:vw1); (9,0,0,0:vw1); (9,1,0,0:vw1); (9,0,1,0:vw1); (9,1,1,0:vw1); (9,0,2,0:vw1); (9,1,2,0:vw1); (9,0,3,0:vw1); (9,1,3,0:vw1); (10,0,0,0:vw1); (10,1,0,0:vw1); (10,0,1,0:vw1); (10,1,1,0:vw1); (10,0,2,0:vw1); (10,1,2,0:vw1); (10,0,3,0:vw1); (10,1,3,0:vw1); (11,0,0,0:vw1); (11,1,0,0:vw1); (11,0,1,0:vw1); (11,1,1,0:vw1); (11,0,2,0:vw1); (11,1,2,0:vw1); (11,0,3,0:vw1); (11,1,3,0:vw1) */
/******************************************/

/* calc coords, apply mask, and issue loads (if necessary) */
/* (d1,vc1,d0,vc0)=(0,0,0,0) */
/* (d1,vc1,d0,vc0)=(0,0,1,0) */
	;; [unrolled: 1-line block ×96, first 2 shown]
_v_add_lshl_u32 v102, v99, v96, 0x1                // optSingleColVgpr scaleToBpe: sharedAddrVgpr <- cinRowPtr + coord0, scaled by BPE. BSHERE:coord0=96, coord0Vgpr=96
v_mov_b32 v[vgprValuC+104], v[vgprValuC+0] // copy MI out reg to vreg[0]
v_mov_b32 v[vgprValuC+105], v[vgprValuC+16] // copy MI out reg to vreg[1]
	;; [unrolled: 1-line block ×96, first 2 shown]

/* apply mask, calc new C and issue writes */
v_cvt_f16_f32 v[vgprValuC+104], v[vgprValuC+104]   // convert C to fp16
_buffer_store_b16 v104, v102, s[sgprSrdD:sgprSrdD+3], 0, offen, offset:0,  glc slc // store D
v_cvt_f16_f32 v[vgprValuC+105], v[vgprValuC+105]   // convert C to fp16
_buffer_store_b16 v105, v102, s[sgprSrdD:sgprSrdD+3], 0, offen, offset:128,  glc slc // store D
v_cvt_f16_f32 v[vgprValuC+106], v[vgprValuC+106]   // convert C to fp16
s_lshl_b32  s32, s[sgprStrideD1J], 1               // incToNextRow: Scale by BPE
s_add_u32  s[sgprSrdD+0], s[sgprSrdD+0], s32       // incToNextRow: gra SRD += inc(lower)
s_addc_u32  s[sgprSrdD+1], s[sgprSrdD+1], 0        // incToNextRow: gra SRD += inc(upper)
_buffer_store_b16 v106, v102, s[sgprSrdD:sgprSrdD+3], 0, offen, offset:0,  glc slc // store D
v_cvt_f16_f32 v[vgprValuC+107], v[vgprValuC+107]   // convert C to fp16
_buffer_store_b16 v107, v102, s[sgprSrdD:sgprSrdD+3], 0, offen, offset:128,  glc slc // store D
v_cvt_f16_f32 v[vgprValuC+108], v[vgprValuC+108]   // convert C to fp16
s_lshl_b32  s32, s[sgprStrideD1J], 1               // incToNextRow: Scale by BPE
s_add_u32  s[sgprSrdD+0], s[sgprSrdD+0], s32       // incToNextRow: gra SRD += inc(lower)
s_addc_u32  s[sgprSrdD+1], s[sgprSrdD+1], 0        // incToNextRow: gra SRD += inc(upper)
_buffer_store_b16 v108, v102, s[sgprSrdD:sgprSrdD+3], 0, offen, offset:0,  glc slc // store D
v_cvt_f16_f32 v[vgprValuC+109], v[vgprValuC+109]   // convert C to fp16
_buffer_store_b16 v109, v102, s[sgprSrdD:sgprSrdD+3], 0, offen, offset:128,  glc slc // store D
v_cvt_f16_f32 v[vgprValuC+110], v[vgprValuC+110]   // convert C to fp16
s_lshl_b32  s32, s[sgprStrideD1J], 1               // incToNextRow: Scale by BPE
s_add_u32  s[sgprSrdD+0], s[sgprSrdD+0], s32       // incToNextRow: gra SRD += inc(lower)
s_addc_u32  s[sgprSrdD+1], s[sgprSrdD+1], 0        // incToNextRow: gra SRD += inc(upper)
_buffer_store_b16 v110, v102, s[sgprSrdD:sgprSrdD+3], 0, offen, offset:0,  glc slc // store D
v_cvt_f16_f32 v[vgprValuC+111], v[vgprValuC+111]   // convert C to fp16
_buffer_store_b16 v111, v102, s[sgprSrdD:sgprSrdD+3], 0, offen, offset:128,  glc slc // store D
v_cvt_f16_f32 v[vgprValuC+112], v[vgprValuC+112]   // convert C to fp16
s_mul_i32 s32, s[sgprStrideD1J], 10                // scale StrideD *= numRows(5) * bpe
s_add_u32  s[sgprSrdD+0], s[sgprSrdD+0], s32       // incToNextRow: gra SRD += inc(lower)
s_addc_u32  s[sgprSrdD+1], s[sgprSrdD+1], 0        // incToNextRow: gra SRD += inc(upper)
_buffer_store_b16 v112, v102, s[sgprSrdD:sgprSrdD+3], 0, offen, offset:0,  glc slc // store D
v_cvt_f16_f32 v[vgprValuC+113], v[vgprValuC+113]   // convert C to fp16
_buffer_store_b16 v113, v102, s[sgprSrdD:sgprSrdD+3], 0, offen, offset:128,  glc slc // store D
v_cvt_f16_f32 v[vgprValuC+114], v[vgprValuC+114]   // convert C to fp16
s_lshl_b32  s32, s[sgprStrideD1J], 1               // incToNextRow: Scale by BPE
s_add_u32  s[sgprSrdD+0], s[sgprSrdD+0], s32       // incToNextRow: gra SRD += inc(lower)
s_addc_u32  s[sgprSrdD+1], s[sgprSrdD+1], 0        // incToNextRow: gra SRD += inc(upper)
_buffer_store_b16 v114, v102, s[sgprSrdD:sgprSrdD+3], 0, offen, offset:0,  glc slc // store D
v_cvt_f16_f32 v[vgprValuC+115], v[vgprValuC+115]   // convert C to fp16
_buffer_store_b16 v115, v102, s[sgprSrdD:sgprSrdD+3], 0, offen, offset:128,  glc slc // store D
v_cvt_f16_f32 v[vgprValuC+116], v[vgprValuC+116]   // convert C to fp16
s_lshl_b32  s32, s[sgprStrideD1J], 1               // incToNextRow: Scale by BPE
s_add_u32  s[sgprSrdD+0], s[sgprSrdD+0], s32       // incToNextRow: gra SRD += inc(lower)
s_addc_u32  s[sgprSrdD+1], s[sgprSrdD+1], 0        // incToNextRow: gra SRD += inc(upper)
_buffer_store_b16 v116, v102, s[sgprSrdD:sgprSrdD+3], 0, offen, offset:0,  glc slc // store D
v_cvt_f16_f32 v[vgprValuC+117], v[vgprValuC+117]   // convert C to fp16
_buffer_store_b16 v117, v102, s[sgprSrdD:sgprSrdD+3], 0, offen, offset:128,  glc slc // store D
v_cvt_f16_f32 v[vgprValuC+118], v[vgprValuC+118]   // convert C to fp16
s_lshl_b32  s32, s[sgprStrideD1J], 1               // incToNextRow: Scale by BPE
s_add_u32  s[sgprSrdD+0], s[sgprSrdD+0], s32       // incToNextRow: gra SRD += inc(lower)
s_addc_u32  s[sgprSrdD+1], s[sgprSrdD+1], 0        // incToNextRow: gra SRD += inc(upper)
_buffer_store_b16 v118, v102, s[sgprSrdD:sgprSrdD+3], 0, offen, offset:0,  glc slc // store D
v_cvt_f16_f32 v[vgprValuC+119], v[vgprValuC+119]   // convert C to fp16
_buffer_store_b16 v119, v102, s[sgprSrdD:sgprSrdD+3], 0, offen, offset:128,  glc slc // store D
v_cvt_f16_f32 v[vgprValuC+120], v[vgprValuC+120]   // convert C to fp16
s_mul_i32 s32, s[sgprStrideD1J], 10                // scale StrideD *= numRows(5) * bpe
s_add_u32  s[sgprSrdD+0], s[sgprSrdD+0], s32       // incToNextRow: gra SRD += inc(lower)
s_addc_u32  s[sgprSrdD+1], s[sgprSrdD+1], 0        // incToNextRow: gra SRD += inc(upper)
	;; [unrolled: 28-line block ×11, first 2 shown]
_buffer_store_b16 v197, v102, s[sgprSrdD:sgprSrdD+3], 0, offen, offset:0,  glc slc // store D
v_cvt_f16_f32 v[vgprValuC+198], v[vgprValuC+198]   // convert C to fp16
_buffer_store_b16 v198, v102, s[sgprSrdD:sgprSrdD+3], 0, offen, offset:128,  glc slc // store D
v_cvt_f16_f32 v[vgprValuC+199], v[vgprValuC+199]   // convert C to fp16
s_lshl_b32  s32, s[sgprStrideD1J], 1               // incToNextRow: Scale by BPE
s_add_u32  s[sgprSrdD+0], s[sgprSrdD+0], s32       // incToNextRow: gra SRD += inc(lower)
s_addc_u32  s[sgprSrdD+1], s[sgprSrdD+1], 0        // incToNextRow: gra SRD += inc(upper)
_buffer_store_b16 v199, v102, s[sgprSrdD:sgprSrdD+3], 0, offen, offset:0,  glc slc // store D
v_cvt_f16_f32 v[vgprValuC+200], v[vgprValuC+200]   // convert C to fp16
_buffer_store_b16 v200, v102, s[sgprSrdD:sgprSrdD+3], 0, offen, offset:128,  glc slc // store D
v_cvt_f16_f32 v[vgprValuC+201], v[vgprValuC+201]   // convert C to fp16
s_lshl_b32  s32, s[sgprStrideD1J], 1               // incToNextRow: Scale by BPE
s_add_u32  s[sgprSrdD+0], s[sgprSrdD+0], s32       // incToNextRow: gra SRD += inc(lower)
s_addc_u32  s[sgprSrdD+1], s[sgprSrdD+1], 0        // incToNextRow: gra SRD += inc(upper)
	;; [unrolled: 7-line block ×3, first 2 shown]
_buffer_store_b16 v203, v102, s[sgprSrdD:sgprSrdD+3], 0, offen, offset:0,  glc slc // store D
v_cvt_f16_f32 v[vgprValuC+204], v[vgprValuC+204]   // convert C to fp16
_buffer_store_b16 v204, v102, s[sgprSrdD:sgprSrdD+3], 0, offen, offset:128,  glc slc // store D
s_nop 0                                            // 1 wait state required when next inst writes vgprs held by previous dwordx4 store inst
s_branch label_GW_End_23                           // jump to end
label_GW_End_23:

s_endpgm                                           // Kernel End
OptNLL_End_17:


/******************************************/
/* Ord. NoLoadLoop - Begin                                      */
/******************************************/


	;; [unrolled: 1-line block ×4, first 2 shown]
/* iter 0 (last unrolled loop) */

/*  grEndMfmaIndex:0, lwStartMfmaIndex:18, lwEndMfmaIndex:18  */
/*  numMfmaForLR:4, barrierMfmaIndex:19, LocalWritePerMfma:0.295 */
/*  mfmaIndex:0  */
s_waitcnt lgkmcnt(0)                               // lgkmcnt=0 vmcnt=-1wait for prior local read local write old=0, new=0 newLW=0 newLR=0
/* pack scheduling: packAIdx:2, packBIdx:2 */
v_or_b32 v[vgprValuA_X0_I0+0], v[vgprValuA_X0_I0+0], v149 // pack two half Vgpr to one Vgpr
v_or_b32 v[vgprValuA_X0_I0+1], v[vgprValuA_X0_I0+1], v150 // pack two half Vgpr to one Vgpr
v_or_b32 v[vgprValuB_X0_I0+0], v[vgprValuB_X0_I0+0], v153 // pack two half Vgpr to one Vgpr
v_or_b32 v[vgprValuB_X0_I0+1], v[vgprValuB_X0_I0+1], v154 // pack two half Vgpr to one Vgpr
v_or_b32 v[vgprValuA_X0_I0+2], v[vgprValuA_X0_I0+2], v151 // pack two half Vgpr to one Vgpr
v_or_b32 v[vgprValuA_X0_I0+3], v[vgprValuA_X0_I0+3], v152 // pack two half Vgpr to one Vgpr
v_mfma_f32_32x32x8bf16_1k v[0+0:15+0], v[vgprValuB_X0_I0+0+0+0:vgprValuB_X0_I0+0+0+0+1], v[vgprValuA_X0_I0+0+0+0:vgprValuA_X0_I0+0+0+0+1], v[0:15]
/*  mfmaIndex:1  */
_ds_load_u16 v[vgprValuA_X1_I0+0], v[vgprLocalReadAddrA] offset:2048 // L -> Reg lro=1024 swapByteOffset=0 ti=64 vIdx=0 rIdx=0 oIdx=0 buffer=1 iui=0
_ds_load_u16_d16_hi v159, v[vgprLocalReadAddrA] offset:2304 // L -> Reg lro=1024 swapByteOffset=0 ti=64 vIdx=0 rIdx=1 oIdx=0 buffer=1 iui=0
_ds_load_u16 v[vgprValuA_X1_I0+1], v[vgprLocalReadAddrA] offset:2560 // L -> Reg lro=1024 swapByteOffset=0 ti=64 vIdx=0 rIdx=2 oIdx=0 buffer=1 iui=0
_ds_load_u16_d16_hi v160, v[vgprLocalReadAddrA] offset:2816 // L -> Reg lro=1024 swapByteOffset=0 ti=64 vIdx=0 rIdx=3 oIdx=0 buffer=1 iui=0
_ds_load_u16 v[vgprValuB_X1_I0+0], v[vgprLocalReadAddrB] offset:3072 // L -> Reg lro=1536 swapByteOffset=0 ti=64 vIdx=0 rIdx=0 oIdx=0 buffer=1 iui=0
_ds_load_u16_d16_hi v163, v[vgprLocalReadAddrB] offset:3456 // L -> Reg lro=1536 swapByteOffset=0 ti=64 vIdx=0 rIdx=1 oIdx=0 buffer=1 iui=0
/* pack scheduling: packAIdx:4, packBIdx:2 */
v_or_b32 v[vgprValuB_X0_I0+2], v[vgprValuB_X0_I0+2], v155 // pack two half Vgpr to one Vgpr
v_or_b32 v[vgprValuB_X0_I0+3], v[vgprValuB_X0_I0+3], v156 // pack two half Vgpr to one Vgpr
	;; [unrolled: 1-line block ×4, first 2 shown]
v_mfma_f32_32x32x8bf16_1k v[16+0:31+0], v[vgprValuB_X0_I0+0+0+0:vgprValuB_X0_I0+0+0+0+1], v[vgprValuA_X0_I0+2+0+0:vgprValuA_X0_I0+2+0+0+1], v[16:31]
/*  mfmaIndex:2  */
_ds_load_u16 v[vgprValuB_X1_I0+1], v[vgprLocalReadAddrB] offset:3840 // L -> Reg lro=1536 swapByteOffset=0 ti=64 vIdx=0 rIdx=2 oIdx=0 buffer=1 iui=0
_ds_load_u16_d16_hi v164, v[vgprLocalReadAddrB] offset:4224 // L -> Reg lro=1536 swapByteOffset=0 ti=64 vIdx=0 rIdx=3 oIdx=0 buffer=1 iui=0
_ds_load_u16 v[vgprValuA_X1_I0+2], v[vgprLocalReadAddrA] offset:2176 // L -> Reg lro=1024 swapByteOffset=0 ti=64 vIdx=1 rIdx=0 oIdx=0 buffer=1 iui=0
_ds_load_u16_d16_hi v161, v[vgprLocalReadAddrA] offset:2432 // L -> Reg lro=1024 swapByteOffset=0 ti=64 vIdx=1 rIdx=1 oIdx=0 buffer=1 iui=0
_ds_load_u16 v[vgprValuA_X1_I0+3], v[vgprLocalReadAddrA] offset:2688 // L -> Reg lro=1024 swapByteOffset=0 ti=64 vIdx=1 rIdx=2 oIdx=0 buffer=1 iui=0
_ds_load_u16_d16_hi v162, v[vgprLocalReadAddrA] offset:2944 // L -> Reg lro=1024 swapByteOffset=0 ti=64 vIdx=1 rIdx=3 oIdx=0 buffer=1 iui=0
v_mfma_f32_32x32x8bf16_1k v[48+0:63+0], v[vgprValuB_X0_I0+2+0+0:vgprValuB_X0_I0+2+0+0+1], v[vgprValuA_X0_I0+2+0+0:vgprValuA_X0_I0+2+0+0+1], v[48:63]
/*  mfmaIndex:3  */
_ds_load_u16 v[vgprValuB_X1_I0+2], v[vgprLocalReadAddrB] offset:3200 // L -> Reg lro=1536 swapByteOffset=0 ti=64 vIdx=1 rIdx=0 oIdx=0 buffer=1 iui=0
_ds_load_u16_d16_hi v165, v[vgprLocalReadAddrB] offset:3584 // L -> Reg lro=1536 swapByteOffset=0 ti=64 vIdx=1 rIdx=1 oIdx=0 buffer=1 iui=0
_ds_load_u16 v[vgprValuB_X1_I0+3], v[vgprLocalReadAddrB] offset:3968 // L -> Reg lro=1536 swapByteOffset=0 ti=64 vIdx=1 rIdx=2 oIdx=0 buffer=1 iui=0
_ds_load_u16_d16_hi v166, v[vgprLocalReadAddrB] offset:4352 // L -> Reg lro=1536 swapByteOffset=0 ti=64 vIdx=1 rIdx=3 oIdx=0 buffer=1 iui=0
_ds_load_u16 v[vgprValuB_X1_I0+4], v[vgprLocalReadAddrB] offset:3328 // L -> Reg lro=1536 swapByteOffset=0 ti=64 vIdx=2 rIdx=0 oIdx=0 buffer=1 iui=0
_ds_load_u16_d16_hi v167, v[vgprLocalReadAddrB] offset:3712 // L -> Reg lro=1536 swapByteOffset=0 ti=64 vIdx=2 rIdx=1 oIdx=0 buffer=1 iui=0
v_mfma_f32_32x32x8bf16_1k v[32+0:47+0], v[vgprValuB_X0_I0+2+0+0:vgprValuB_X0_I0+2+0+0+1], v[vgprValuA_X0_I0+0+0+0:vgprValuA_X0_I0+0+0+0+1], v[32:47]
/*  mfmaIndex:4  */
_ds_load_u16 v[vgprValuB_X1_I0+5], v[vgprLocalReadAddrB] offset:4096 // L -> Reg lro=1536 swapByteOffset=0 ti=64 vIdx=2 rIdx=2 oIdx=0 buffer=1 iui=0
_ds_load_u16_d16_hi v168, v[vgprLocalReadAddrB] offset:4480 // L -> Reg lro=1536 swapByteOffset=0 ti=64 vIdx=2 rIdx=3 oIdx=0 buffer=1 iui=0
/* localReadsVacancy: latencyLeft 9 */
v_mfma_f32_32x32x8bf16_1k v[64+0:79+0], v[vgprValuB_X0_I0+4+0+0:vgprValuB_X0_I0+4+0+0+1], v[vgprValuA_X0_I0+0+0+0:vgprValuA_X0_I0+0+0+0+1], v[64:79]
/*  mfmaIndex:5  */
/* localReadsVacancy: latencyLeft 13 */
v_mfma_f32_32x32x8bf16_1k v[80+0:95+0], v[vgprValuB_X0_I0+4+0+0:vgprValuB_X0_I0+4+0+0+1], v[vgprValuA_X0_I0+2+0+0:vgprValuA_X0_I0+2+0+0+1], v[80:95]
/* numPrefetchIter=0 */
/* dataAtIterA=-1 numReadsIterA=1 skipReadsIterA=1 readsPerIterA=8 */
/* dataAtIterB=-1 numReadsIterB=1 skipReadsIterB=1 readsPerIterB=12 */


/* iter 1 (last unrolled loop) */

/*  grEndMfmaIndex:0, lwStartMfmaIndex:18, lwEndMfmaIndex:18  */
/*  numMfmaForLR:4, barrierMfmaIndex:19, LocalWritePerMfma:0.295 */
/*  mfmaIndex:6  */
_ds_load_u16 v[vgprValuA_X0_I0+0], v[vgprLocalReadAddrA] offset:4096 // L -> Reg lro=2048 swapByteOffset=0 ti=64 vIdx=0 rIdx=0 oIdx=0 buffer=0 iui=0
_ds_load_u16_d16_hi v149, v[vgprLocalReadAddrA] offset:4352 // L -> Reg lro=2048 swapByteOffset=0 ti=64 vIdx=0 rIdx=1 oIdx=0 buffer=0 iui=0
_ds_load_u16 v[vgprValuA_X0_I0+1], v[vgprLocalReadAddrA] offset:4608 // L -> Reg lro=2048 swapByteOffset=0 ti=64 vIdx=0 rIdx=2 oIdx=0 buffer=0 iui=0
_ds_load_u16_d16_hi v150, v[vgprLocalReadAddrA] offset:4864 // L -> Reg lro=2048 swapByteOffset=0 ti=64 vIdx=0 rIdx=3 oIdx=0 buffer=0 iui=0
_ds_load_u16 v[vgprValuB_X0_I0+0], v[vgprLocalReadAddrB] offset:6144 // L -> Reg lro=3072 swapByteOffset=0 ti=64 vIdx=0 rIdx=0 oIdx=0 buffer=0 iui=0
_ds_load_u16_d16_hi v153, v[vgprLocalReadAddrB] offset:6528 // L -> Reg lro=3072 swapByteOffset=0 ti=64 vIdx=0 rIdx=1 oIdx=0 buffer=0 iui=0
s_waitcnt lgkmcnt(6)                               // lgkmcnt=0 vmcnt=-1wait for prior local read local write old=0, new=6 newLW=0 newLR=6
/* pack scheduling: packAIdx:2, packBIdx:2 */
v_or_b32 v[vgprValuA_X1_I0+0], v[vgprValuA_X1_I0+0], v159 // pack two half Vgpr to one Vgpr
v_or_b32 v[vgprValuA_X1_I0+1], v[vgprValuA_X1_I0+1], v160 // pack two half Vgpr to one Vgpr
v_or_b32 v[vgprValuB_X1_I0+0], v[vgprValuB_X1_I0+0], v163 // pack two half Vgpr to one Vgpr
v_or_b32 v[vgprValuB_X1_I0+1], v[vgprValuB_X1_I0+1], v164 // pack two half Vgpr to one Vgpr
v_or_b32 v[vgprValuA_X1_I0+2], v[vgprValuA_X1_I0+2], v161 // pack two half Vgpr to one Vgpr
v_or_b32 v[vgprValuA_X1_I0+3], v[vgprValuA_X1_I0+3], v162 // pack two half Vgpr to one Vgpr
v_mfma_f32_32x32x8bf16_1k v[0+0:15+0], v[vgprValuB_X1_I0+0+0+0:vgprValuB_X1_I0+0+0+0+1], v[vgprValuA_X1_I0+0+0+0:vgprValuA_X1_I0+0+0+0+1], v[0:15]
/*  mfmaIndex:7  */
_ds_load_u16 v[vgprValuB_X0_I0+1], v[vgprLocalReadAddrB] offset:6912 // L -> Reg lro=3072 swapByteOffset=0 ti=64 vIdx=0 rIdx=2 oIdx=0 buffer=0 iui=0
_ds_load_u16_d16_hi v154, v[vgprLocalReadAddrB] offset:7296 // L -> Reg lro=3072 swapByteOffset=0 ti=64 vIdx=0 rIdx=3 oIdx=0 buffer=0 iui=0
_ds_load_u16 v[vgprValuA_X0_I0+2], v[vgprLocalReadAddrA] offset:4224 // L -> Reg lro=2048 swapByteOffset=0 ti=64 vIdx=1 rIdx=0 oIdx=0 buffer=0 iui=0
_ds_load_u16_d16_hi v151, v[vgprLocalReadAddrA] offset:4480 // L -> Reg lro=2048 swapByteOffset=0 ti=64 vIdx=1 rIdx=1 oIdx=0 buffer=0 iui=0
_ds_load_u16 v[vgprValuA_X0_I0+3], v[vgprLocalReadAddrA] offset:4736 // L -> Reg lro=2048 swapByteOffset=0 ti=64 vIdx=1 rIdx=2 oIdx=0 buffer=0 iui=0
_ds_load_u16_d16_hi v152, v[vgprLocalReadAddrA] offset:4992 // L -> Reg lro=2048 swapByteOffset=0 ti=64 vIdx=1 rIdx=3 oIdx=0 buffer=0 iui=0
/* pack scheduling: packAIdx:4, packBIdx:2 */
v_or_b32 v[vgprValuB_X1_I0+2], v[vgprValuB_X1_I0+2], v165 // pack two half Vgpr to one Vgpr
v_or_b32 v[vgprValuB_X1_I0+3], v[vgprValuB_X1_I0+3], v166 // pack two half Vgpr to one Vgpr
	;; [unrolled: 1-line block ×4, first 2 shown]
v_mfma_f32_32x32x8bf16_1k v[16+0:31+0], v[vgprValuB_X1_I0+0+0+0:vgprValuB_X1_I0+0+0+0+1], v[vgprValuA_X1_I0+2+0+0:vgprValuA_X1_I0+2+0+0+1], v[16:31]
/*  mfmaIndex:8  */
_ds_load_u16 v[vgprValuB_X0_I0+2], v[vgprLocalReadAddrB] offset:6272 // L -> Reg lro=3072 swapByteOffset=0 ti=64 vIdx=1 rIdx=0 oIdx=0 buffer=0 iui=0
_ds_load_u16_d16_hi v155, v[vgprLocalReadAddrB] offset:6656 // L -> Reg lro=3072 swapByteOffset=0 ti=64 vIdx=1 rIdx=1 oIdx=0 buffer=0 iui=0
_ds_load_u16 v[vgprValuB_X0_I0+3], v[vgprLocalReadAddrB] offset:7040 // L -> Reg lro=3072 swapByteOffset=0 ti=64 vIdx=1 rIdx=2 oIdx=0 buffer=0 iui=0
_ds_load_u16_d16_hi v156, v[vgprLocalReadAddrB] offset:7424 // L -> Reg lro=3072 swapByteOffset=0 ti=64 vIdx=1 rIdx=3 oIdx=0 buffer=0 iui=0
_ds_load_u16 v[vgprValuB_X0_I0+4], v[vgprLocalReadAddrB] offset:6400 // L -> Reg lro=3072 swapByteOffset=0 ti=64 vIdx=2 rIdx=0 oIdx=0 buffer=0 iui=0
_ds_load_u16_d16_hi v157, v[vgprLocalReadAddrB] offset:6784 // L -> Reg lro=3072 swapByteOffset=0 ti=64 vIdx=2 rIdx=1 oIdx=0 buffer=0 iui=0
v_mfma_f32_32x32x8bf16_1k v[48+0:63+0], v[vgprValuB_X1_I0+2+0+0:vgprValuB_X1_I0+2+0+0+1], v[vgprValuA_X1_I0+2+0+0:vgprValuA_X1_I0+2+0+0+1], v[48:63]
/*  mfmaIndex:9  */
_ds_load_u16 v[vgprValuB_X0_I0+5], v[vgprLocalReadAddrB] offset:7168 // L -> Reg lro=3072 swapByteOffset=0 ti=64 vIdx=2 rIdx=2 oIdx=0 buffer=0 iui=0
_ds_load_u16_d16_hi v158, v[vgprLocalReadAddrB] offset:7552 // L -> Reg lro=3072 swapByteOffset=0 ti=64 vIdx=2 rIdx=3 oIdx=0 buffer=0 iui=0
/* localReadsVacancy: latencyLeft 9 */
v_mfma_f32_32x32x8bf16_1k v[32+0:47+0], v[vgprValuB_X1_I0+2+0+0:vgprValuB_X1_I0+2+0+0+1], v[vgprValuA_X1_I0+0+0+0:vgprValuA_X1_I0+0+0+0+1], v[32:47]
/*  mfmaIndex:10  */
/* localReadsVacancy: latencyLeft 13 */
v_mfma_f32_32x32x8bf16_1k v[64+0:79+0], v[vgprValuB_X1_I0+4+0+0:vgprValuB_X1_I0+4+0+0+1], v[vgprValuA_X1_I0+0+0+0:vgprValuA_X1_I0+0+0+0+1], v[64:79]
/*  mfmaIndex:11  */
/* localReadsVacancy: latencyLeft 13 */
v_mfma_f32_32x32x8bf16_1k v[80+0:95+0], v[vgprValuB_X1_I0+4+0+0:vgprValuB_X1_I0+4+0+0+1], v[vgprValuA_X1_I0+2+0+0:vgprValuA_X1_I0+2+0+0+1], v[80:95]
/* numPrefetchIter=0 */
/* dataAtIterA=0 numReadsIterA=2 skipReadsIterA=1 readsPerIterA=8 */
/* dataAtIterB=0 numReadsIterB=2 skipReadsIterB=1 readsPerIterB=12 */


/* iter 2 (last unrolled loop) */

/*  grEndMfmaIndex:0, lwStartMfmaIndex:18, lwEndMfmaIndex:18  */
/*  numMfmaForLR:4, barrierMfmaIndex:19, LocalWritePerMfma:0.295 */
/*  mfmaIndex:12  */
_ds_load_u16 v[vgprValuA_X1_I0+0], v[vgprLocalReadAddrA] offset:6144 // L -> Reg lro=3072 swapByteOffset=0 ti=64 vIdx=0 rIdx=0 oIdx=0 buffer=1 iui=0
_ds_load_u16_d16_hi v159, v[vgprLocalReadAddrA] offset:6400 // L -> Reg lro=3072 swapByteOffset=0 ti=64 vIdx=0 rIdx=1 oIdx=0 buffer=1 iui=0
_ds_load_u16 v[vgprValuA_X1_I0+1], v[vgprLocalReadAddrA] offset:6656 // L -> Reg lro=3072 swapByteOffset=0 ti=64 vIdx=0 rIdx=2 oIdx=0 buffer=1 iui=0
_ds_load_u16_d16_hi v160, v[vgprLocalReadAddrA] offset:6912 // L -> Reg lro=3072 swapByteOffset=0 ti=64 vIdx=0 rIdx=3 oIdx=0 buffer=1 iui=0
_ds_load_u16 v[vgprValuB_X1_I0+0], v[vgprLocalReadAddrB] offset:9216 // L -> Reg lro=4608 swapByteOffset=0 ti=64 vIdx=0 rIdx=0 oIdx=0 buffer=1 iui=0
_ds_load_u16_d16_hi v163, v[vgprLocalReadAddrB] offset:9600 // L -> Reg lro=4608 swapByteOffset=0 ti=64 vIdx=0 rIdx=1 oIdx=0 buffer=1 iui=0
s_waitcnt lgkmcnt(6)                               // lgkmcnt=0 vmcnt=-1wait for prior local read local write old=0, new=6 newLW=0 newLR=6
/* pack scheduling: packAIdx:2, packBIdx:2 */
v_or_b32 v[vgprValuA_X0_I0+0], v[vgprValuA_X0_I0+0], v149 // pack two half Vgpr to one Vgpr
v_or_b32 v[vgprValuA_X0_I0+1], v[vgprValuA_X0_I0+1], v150 // pack two half Vgpr to one Vgpr
v_or_b32 v[vgprValuB_X0_I0+0], v[vgprValuB_X0_I0+0], v153 // pack two half Vgpr to one Vgpr
v_or_b32 v[vgprValuB_X0_I0+1], v[vgprValuB_X0_I0+1], v154 // pack two half Vgpr to one Vgpr
v_or_b32 v[vgprValuA_X0_I0+2], v[vgprValuA_X0_I0+2], v151 // pack two half Vgpr to one Vgpr
v_or_b32 v[vgprValuA_X0_I0+3], v[vgprValuA_X0_I0+3], v152 // pack two half Vgpr to one Vgpr
v_mfma_f32_32x32x8bf16_1k v[0+0:15+0], v[vgprValuB_X0_I0+0+0+0:vgprValuB_X0_I0+0+0+0+1], v[vgprValuA_X0_I0+0+0+0:vgprValuA_X0_I0+0+0+0+1], v[0:15]
/*  mfmaIndex:13  */
_ds_load_u16 v[vgprValuB_X1_I0+1], v[vgprLocalReadAddrB] offset:9984 // L -> Reg lro=4608 swapByteOffset=0 ti=64 vIdx=0 rIdx=2 oIdx=0 buffer=1 iui=0
_ds_load_u16_d16_hi v164, v[vgprLocalReadAddrB] offset:10368 // L -> Reg lro=4608 swapByteOffset=0 ti=64 vIdx=0 rIdx=3 oIdx=0 buffer=1 iui=0
_ds_load_u16 v[vgprValuA_X1_I0+2], v[vgprLocalReadAddrA] offset:6272 // L -> Reg lro=3072 swapByteOffset=0 ti=64 vIdx=1 rIdx=0 oIdx=0 buffer=1 iui=0
_ds_load_u16_d16_hi v161, v[vgprLocalReadAddrA] offset:6528 // L -> Reg lro=3072 swapByteOffset=0 ti=64 vIdx=1 rIdx=1 oIdx=0 buffer=1 iui=0
_ds_load_u16 v[vgprValuA_X1_I0+3], v[vgprLocalReadAddrA] offset:6784 // L -> Reg lro=3072 swapByteOffset=0 ti=64 vIdx=1 rIdx=2 oIdx=0 buffer=1 iui=0
_ds_load_u16_d16_hi v162, v[vgprLocalReadAddrA] offset:7040 // L -> Reg lro=3072 swapByteOffset=0 ti=64 vIdx=1 rIdx=3 oIdx=0 buffer=1 iui=0
/* pack scheduling: packAIdx:4, packBIdx:2 */
v_or_b32 v[vgprValuB_X0_I0+2], v[vgprValuB_X0_I0+2], v155 // pack two half Vgpr to one Vgpr
v_or_b32 v[vgprValuB_X0_I0+3], v[vgprValuB_X0_I0+3], v156 // pack two half Vgpr to one Vgpr
	;; [unrolled: 1-line block ×4, first 2 shown]
v_mfma_f32_32x32x8bf16_1k v[16+0:31+0], v[vgprValuB_X0_I0+0+0+0:vgprValuB_X0_I0+0+0+0+1], v[vgprValuA_X0_I0+2+0+0:vgprValuA_X0_I0+2+0+0+1], v[16:31]
/*  mfmaIndex:14  */
_ds_load_u16 v[vgprValuB_X1_I0+2], v[vgprLocalReadAddrB] offset:9344 // L -> Reg lro=4608 swapByteOffset=0 ti=64 vIdx=1 rIdx=0 oIdx=0 buffer=1 iui=0
_ds_load_u16_d16_hi v165, v[vgprLocalReadAddrB] offset:9728 // L -> Reg lro=4608 swapByteOffset=0 ti=64 vIdx=1 rIdx=1 oIdx=0 buffer=1 iui=0
_ds_load_u16 v[vgprValuB_X1_I0+3], v[vgprLocalReadAddrB] offset:10112 // L -> Reg lro=4608 swapByteOffset=0 ti=64 vIdx=1 rIdx=2 oIdx=0 buffer=1 iui=0
_ds_load_u16_d16_hi v166, v[vgprLocalReadAddrB] offset:10496 // L -> Reg lro=4608 swapByteOffset=0 ti=64 vIdx=1 rIdx=3 oIdx=0 buffer=1 iui=0
	;; [unrolled: 2-line block ×3, first 2 shown]
v_mfma_f32_32x32x8bf16_1k v[48+0:63+0], v[vgprValuB_X0_I0+2+0+0:vgprValuB_X0_I0+2+0+0+1], v[vgprValuA_X0_I0+2+0+0:vgprValuA_X0_I0+2+0+0+1], v[48:63]
/*  mfmaIndex:15  */
_ds_load_u16 v[vgprValuB_X1_I0+5], v[vgprLocalReadAddrB] offset:10240 // L -> Reg lro=4608 swapByteOffset=0 ti=64 vIdx=2 rIdx=2 oIdx=0 buffer=1 iui=0
_ds_load_u16_d16_hi v168, v[vgprLocalReadAddrB] offset:10624 // L -> Reg lro=4608 swapByteOffset=0 ti=64 vIdx=2 rIdx=3 oIdx=0 buffer=1 iui=0
/* localReadsVacancy: latencyLeft 9 */
v_mfma_f32_32x32x8bf16_1k v[32+0:47+0], v[vgprValuB_X0_I0+2+0+0:vgprValuB_X0_I0+2+0+0+1], v[vgprValuA_X0_I0+0+0+0:vgprValuA_X0_I0+0+0+0+1], v[32:47]
/*  mfmaIndex:16  */
/* localReadsVacancy: latencyLeft 13 */
v_mfma_f32_32x32x8bf16_1k v[64+0:79+0], v[vgprValuB_X0_I0+4+0+0:vgprValuB_X0_I0+4+0+0+1], v[vgprValuA_X0_I0+0+0+0:vgprValuA_X0_I0+0+0+0+1], v[64:79]
/*  mfmaIndex:17  */
/* localReadsVacancy: latencyLeft 13 */
v_mfma_f32_32x32x8bf16_1k v[80+0:95+0], v[vgprValuB_X0_I0+4+0+0:vgprValuB_X0_I0+4+0+0+1], v[vgprValuA_X0_I0+2+0+0:vgprValuA_X0_I0+2+0+0+1], v[80:95]
/* numPrefetchIter=0 */
/* dataAtIterA=1 numReadsIterA=3 skipReadsIterA=1 readsPerIterA=8 */
/* dataAtIterB=1 numReadsIterB=3 skipReadsIterB=1 readsPerIterB=12 */


/* iter 3 (last unrolled loop) */

/*  grEndMfmaIndex:0, lwStartMfmaIndex:18, lwEndMfmaIndex:18  */
/*  numMfmaForLR:4, barrierMfmaIndex:19, LocalWritePerMfma:0.295 */
/*  mfmaIndex:18  */
s_waitcnt lgkmcnt(0)                               // lgkmcnt=0 vmcnt=-1wait for prior local read local write old=0, new=0 newLW=0 newLR=0
/* pack scheduling: packAIdx:2, packBIdx:2 */
v_or_b32 v[vgprValuA_X1_I0+0], v[vgprValuA_X1_I0+0], v159 // pack two half Vgpr to one Vgpr
v_or_b32 v[vgprValuA_X1_I0+1], v[vgprValuA_X1_I0+1], v160 // pack two half Vgpr to one Vgpr
v_or_b32 v[vgprValuB_X1_I0+0], v[vgprValuB_X1_I0+0], v163 // pack two half Vgpr to one Vgpr
v_or_b32 v[vgprValuB_X1_I0+1], v[vgprValuB_X1_I0+1], v164 // pack two half Vgpr to one Vgpr
v_or_b32 v[vgprValuA_X1_I0+2], v[vgprValuA_X1_I0+2], v161 // pack two half Vgpr to one Vgpr
v_or_b32 v[vgprValuA_X1_I0+3], v[vgprValuA_X1_I0+3], v162 // pack two half Vgpr to one Vgpr
v_mfma_f32_32x32x8bf16_1k v[0+0:15+0], v[vgprValuB_X1_I0+0+0+0:vgprValuB_X1_I0+0+0+0+1], v[vgprValuA_X1_I0+0+0+0:vgprValuA_X1_I0+0+0+0+1], v[0:15]
/*  mfmaIndex:19  */
/* pack scheduling: packAIdx:4, packBIdx:2 */
v_or_b32 v[vgprValuB_X1_I0+2], v[vgprValuB_X1_I0+2], v165 // pack two half Vgpr to one Vgpr
v_or_b32 v[vgprValuB_X1_I0+3], v[vgprValuB_X1_I0+3], v166 // pack two half Vgpr to one Vgpr
	;; [unrolled: 1-line block ×4, first 2 shown]
v_mfma_f32_32x32x8bf16_1k v[16+0:31+0], v[vgprValuB_X1_I0+0+0+0:vgprValuB_X1_I0+0+0+0+1], v[vgprValuA_X1_I0+2+0+0:vgprValuA_X1_I0+2+0+0+1], v[16:31]
/*  mfmaIndex:20  */
v_mfma_f32_32x32x8bf16_1k v[48+0:63+0], v[vgprValuB_X1_I0+2+0+0:vgprValuB_X1_I0+2+0+0+1], v[vgprValuA_X1_I0+2+0+0:vgprValuA_X1_I0+2+0+0+1], v[48:63]
/*  mfmaIndex:21  */
	;; [unrolled: 2-line block ×4, first 2 shown]
v_mfma_f32_32x32x8bf16_1k v[80+0:95+0], v[vgprValuB_X1_I0+4+0+0:vgprValuB_X1_I0+4+0+0+1], v[vgprValuA_X1_I0+2+0+0:vgprValuA_X1_I0+2+0+0+1], v[80:95]
/* numPrefetchIter=0 */
/* dataAtIterA=2 numReadsIterA=3 skipReadsIterA=0 readsPerIterA=8 */
/* dataAtIterB=2 numReadsIterB=3 skipReadsIterB=0 readsPerIterB=12 */

PrefetchGlobalLastIterEnd_5:


/******************************************/
/* Tail Loop                              */
/******************************************/


/* local write reset offsets a */


v_and_b32 v[vgprLocalWriteAddrA], 0xf07fff, v[vgprLocalWriteAddrA] // reset to Red


/* local write reset offsets b */


v_and_b32 v[vgprLocalWriteAddrB], 0xf07fff, v[vgprLocalWriteAddrB] // reset to Red


//numIterL = (((sizeL % LOCAL_DEPTHU) + LOCAL_SPLITU - 1) / LOCAL_SPLITU)
s_and_b32 s[sgprLoopCounterL], 31, s[sgprSizesSum+0] // s[sgprLoopCounterL] = s[sgprSizesSum+0] % 32
s_cmp_eq_u32 s[sgprLoopCounterL], 0x0              // numIterL == 0
s_cbranch_scc1 SkipTailLoopL_8                     // skip to end of tail loop b/c numIter==0
s_mov_b32 s[sgprOrigLoopCounter], 0                // repurpose to count each localRead increment


/* Update M0 for DTLDS */


	;; [unrolled: 1-line block ×3, first 2 shown]
/* global read a */

/* g2l=0, load component 0 */
_buffer_load_d16_b16 v[vgprG2LA+0+0], v[vgprGlobalReadOffsetA+0], s[sgprSrdA:sgprSrdA+3], 0, offen offset:0 // load one buffer value
/* g2l=0, load component 1 */
_buffer_load_d16_hi_b16 v149, v[vgprGlobalReadOffsetA+0], s[sgprSrdA:sgprSrdA+3], 0, offen offset:2 // load one buffer value
s_waitcnt vmcnt(0)
v_or_b32 v[vgprG2LA+0+0], v[vgprG2LA+0+0], v149 // HasEccHalf: pack
/* g2l=0, load component 2 */
_buffer_load_d16_b16 v[vgprG2LA+0+1], v[vgprGlobalReadOffsetA+0], s[sgprSrdA:sgprSrdA+3], 0, offen offset:4 // load one buffer value
/* g2l=0, load component 3 */
_buffer_load_d16_hi_b16 v149, v[vgprGlobalReadOffsetA+0], s[sgprSrdA:sgprSrdA+3], 0, offen offset:6 // load one buffer value
s_waitcnt vmcnt(0)
v_or_b32 v[vgprG2LA+0+1], v[vgprG2LA+0+1], v149 // HasEccHalf: pack
	;; [unrolled: 6-line block ×8, first 2 shown]


/* Update M0 for DTLDS */


	;; [unrolled: 1-line block ×3, first 2 shown]
/* global read b */

/* g2l=0, load component 0 */
_buffer_load_d16_b16 v[vgprG2LB+0+0], v[vgprGlobalReadOffsetB+0], s[sgprSrdB:sgprSrdB+3], 0, offen offset:0 // load one buffer value
/* g2l=0, load component 1 */
_buffer_load_d16_hi_b16 v149, v[vgprGlobalReadOffsetB+0], s[sgprSrdB:sgprSrdB+3], 0, offen offset:2 // load one buffer value
s_waitcnt vmcnt(0)
v_or_b32 v[vgprG2LB+0+0], v[vgprG2LB+0+0], v149 // HasEccHalf: pack
/* g2l=0, load component 2 */
_buffer_load_d16_b16 v[vgprG2LB+0+1], v[vgprGlobalReadOffsetB+0], s[sgprSrdB:sgprSrdB+3], 0, offen offset:4 // load one buffer value
/* g2l=0, load component 3 */
_buffer_load_d16_hi_b16 v149, v[vgprGlobalReadOffsetB+0], s[sgprSrdB:sgprSrdB+3], 0, offen offset:6 // load one buffer value
s_waitcnt vmcnt(0)
v_or_b32 v[vgprG2LB+0+1], v[vgprG2LB+0+1], v149 // HasEccHalf: pack
/* g2l=0, load component 4 */
_buffer_load_d16_b16 v[vgprG2LB+0+2], v[vgprGlobalReadOffsetB+0], s[sgprSrdB:sgprSrdB+3], 0, offen offset:8 // load one buffer value
/* g2l=0, load component 5 */
_buffer_load_d16_hi_b16 v149, v[vgprGlobalReadOffsetB+0], s[sgprSrdB:sgprSrdB+3], 0, offen offset:10 // load one buffer value
s_waitcnt vmcnt(0)
v_or_b32 v[vgprG2LB+0+2], v[vgprG2LB+0+2], v149 // HasEccHalf: pack
/* g2l=0, load component 6 */
_buffer_load_d16_b16 v[vgprG2LB+0+3], v[vgprGlobalReadOffsetB+0], s[sgprSrdB:sgprSrdB+3], 0, offen offset:12 // load one buffer value
/* g2l=0, load component 7 */
_buffer_load_d16_hi_b16 v149, v[vgprGlobalReadOffsetB+0], s[sgprSrdB:sgprSrdB+3], 0, offen offset:14 // load one buffer value
s_waitcnt vmcnt(0)
v_or_b32 v[vgprG2LB+0+3], v[vgprG2LB+0+3], v149 // HasEccHalf: pack
/* g2l=4, load component 0 */
_buffer_load_d16_b16 v[vgprG2LB+4+0], v[vgprGlobalReadOffsetB+1], s[sgprSrdB:sgprSrdB+3], 0, offen offset:0 // load one buffer value
/* g2l=4, load component 1 */
_buffer_load_d16_hi_b16 v149, v[vgprGlobalReadOffsetB+1], s[sgprSrdB:sgprSrdB+3], 0, offen offset:2 // load one buffer value
s_waitcnt vmcnt(0)
v_or_b32 v[vgprG2LB+4+0], v[vgprG2LB+4+0], v149 // HasEccHalf: pack
/* g2l=4, load component 2 */
_buffer_load_d16_b16 v[vgprG2LB+4+1], v[vgprGlobalReadOffsetB+1], s[sgprSrdB:sgprSrdB+3], 0, offen offset:4 // load one buffer value
/* g2l=4, load component 3 */
_buffer_load_d16_hi_b16 v149, v[vgprGlobalReadOffsetB+1], s[sgprSrdB:sgprSrdB+3], 0, offen offset:6 // load one buffer value
s_waitcnt vmcnt(0)
v_or_b32 v[vgprG2LB+4+1], v[vgprG2LB+4+1], v149 // HasEccHalf: pack
/* g2l=4, load component 4 */
_buffer_load_d16_b16 v[vgprG2LB+4+2], v[vgprGlobalReadOffsetB+1], s[sgprSrdB:sgprSrdB+3], 0, offen offset:8 // load one buffer value
/* g2l=4, load component 5 */
_buffer_load_d16_hi_b16 v149, v[vgprGlobalReadOffsetB+1], s[sgprSrdB:sgprSrdB+3], 0, offen offset:10 // load one buffer value
s_waitcnt vmcnt(0)
v_or_b32 v[vgprG2LB+4+2], v[vgprG2LB+4+2], v149 // HasEccHalf: pack
/* g2l=4, load component 6 */
_buffer_load_d16_b16 v[vgprG2LB+4+3], v[vgprGlobalReadOffsetB+1], s[sgprSrdB:sgprSrdB+3], 0, offen offset:12 // load one buffer value
/* g2l=4, load component 7 */
_buffer_load_d16_hi_b16 v149, v[vgprGlobalReadOffsetB+1], s[sgprSrdB:sgprSrdB+3], 0, offen offset:14 // load one buffer value
s_waitcnt vmcnt(0)
v_or_b32 v[vgprG2LB+4+3], v[vgprG2LB+4+3], v149 // HasEccHalf: pack
/* g2l=8, load component 0 */
_buffer_load_d16_b16 v[vgprG2LB+8+0], v[vgprGlobalReadOffsetB+2], s[sgprSrdB:sgprSrdB+3], 0, offen offset:0 // load one buffer value
/* g2l=8, load component 1 */
_buffer_load_d16_hi_b16 v149, v[vgprGlobalReadOffsetB+2], s[sgprSrdB:sgprSrdB+3], 0, offen offset:2 // load one buffer value
s_waitcnt vmcnt(0)
v_or_b32 v[vgprG2LB+8+0], v[vgprG2LB+8+0], v149 // HasEccHalf: pack
/* g2l=8, load component 2 */
_buffer_load_d16_b16 v[vgprG2LB+8+1], v[vgprGlobalReadOffsetB+2], s[sgprSrdB:sgprSrdB+3], 0, offen offset:4 // load one buffer value
/* g2l=8, load component 3 */
_buffer_load_d16_hi_b16 v149, v[vgprGlobalReadOffsetB+2], s[sgprSrdB:sgprSrdB+3], 0, offen offset:6 // load one buffer value
s_waitcnt vmcnt(0)
v_or_b32 v[vgprG2LB+8+1], v[vgprG2LB+8+1], v149 // HasEccHalf: pack
/* g2l=8, load component 4 */
_buffer_load_d16_b16 v[vgprG2LB+8+2], v[vgprGlobalReadOffsetB+2], s[sgprSrdB:sgprSrdB+3], 0, offen offset:8 // load one buffer value
/* g2l=8, load component 5 */
_buffer_load_d16_hi_b16 v149, v[vgprGlobalReadOffsetB+2], s[sgprSrdB:sgprSrdB+3], 0, offen offset:10 // load one buffer value
s_waitcnt vmcnt(0)
v_or_b32 v[vgprG2LB+8+2], v[vgprG2LB+8+2], v149 // HasEccHalf: pack
/* g2l=8, load component 6 */
_buffer_load_d16_b16 v[vgprG2LB+8+3], v[vgprGlobalReadOffsetB+2], s[sgprSrdB:sgprSrdB+3], 0, offen offset:12 // load one buffer value
/* g2l=8, load component 7 */
_buffer_load_d16_hi_b16 v149, v[vgprGlobalReadOffsetB+2], s[sgprSrdB:sgprSrdB+3], 0, offen offset:14 // load one buffer value
s_waitcnt vmcnt(0)
v_or_b32 v[vgprG2LB+8+3], v[vgprG2LB+8+3], v149 // HasEccHalf: pack

s_waitcnt vmcnt(0)                                 // lgkmcnt=-1 vmcnt=02wait for global read

// Skip force waitcnt0
s_barrier //


/* Done global A/B reads */


	;; [unrolled: 1-line block ×4, first 2 shown]
/* local write a */

v_cvt_f32_f16 v[vgprG2Lpipe0], v[vgprG2LA+0]       // 
v_cvt_f32_f16 v[vgprG2Lpipe1], v[vgprG2LA+0], src0_sel:WORD_1 // 
v_pack_b32_f16 v[vgprG2LA+0], v[vgprG2Lpipe0], v[vgprG2Lpipe1], op_sel:[1,1,0] // 
v_cvt_f32_f16 v[vgprG2Lpipe0], v[vgprG2LA+1]       // 
v_cvt_f32_f16 v[vgprG2Lpipe1], v[vgprG2LA+1], src0_sel:WORD_1 // 
v_pack_b32_f16 v[vgprG2LA+1], v[vgprG2Lpipe0], v[vgprG2Lpipe1], op_sel:[1,1,0] // 
	;; [unrolled: 3-line block ×4, first 2 shown]
_ds_store_b128 v[vgprLocalWriteAddrA], v[vgprG2LA+0:vgprG2LA+0+3] offset:0 // lwoA_0_0_0_0 = (0*LSCA) + (0*LSPA)(*MT0I+PAD) = 0
v_cvt_f32_f16 v[vgprG2Lpipe0], v[vgprG2LA+4]       // 
v_cvt_f32_f16 v[vgprG2Lpipe1], v[vgprG2LA+4], src0_sel:WORD_1 // 
v_pack_b32_f16 v[vgprG2LA+4], v[vgprG2Lpipe0], v[vgprG2Lpipe1], op_sel:[1,1,0] // 
v_cvt_f32_f16 v[vgprG2Lpipe0], v[vgprG2LA+5]       // 
v_cvt_f32_f16 v[vgprG2Lpipe1], v[vgprG2LA+5], src0_sel:WORD_1 // 
v_pack_b32_f16 v[vgprG2LA+5], v[vgprG2Lpipe0], v[vgprG2Lpipe1], op_sel:[1,1,0] // 
	;; [unrolled: 3-line block ×4, first 2 shown]
_ds_store_b128 v[vgprLocalWriteAddrA], v[vgprG2LA+4:vgprG2LA+4+3] offset:1024 // lwoA_0_0_1_0 = (0*LSCA) + (1*LSPA)(*MT0I+PAD) = 1024


/* local write b */

v_cvt_f32_f16 v[vgprG2Lpipe0], v[vgprG2LB+0]       // 
v_cvt_f32_f16 v[vgprG2Lpipe1], v[vgprG2LB+0], src0_sel:WORD_1 // 
v_pack_b32_f16 v[vgprG2LB+0], v[vgprG2Lpipe0], v[vgprG2Lpipe1], op_sel:[1,1,0] // 
v_cvt_f32_f16 v[vgprG2Lpipe0], v[vgprG2LB+1]       // 
v_cvt_f32_f16 v[vgprG2Lpipe1], v[vgprG2LB+1], src0_sel:WORD_1 // 
v_pack_b32_f16 v[vgprG2LB+1], v[vgprG2Lpipe0], v[vgprG2Lpipe1], op_sel:[1,1,0] // 
	;; [unrolled: 3-line block ×4, first 2 shown]
_ds_store_b128 v[vgprLocalWriteAddrB], v[vgprG2LB+0:vgprG2LB+0+3] offset:0 // lwoB_0_0_0_0 = (0*LSCB) + (0*LSPB)(*MT1J+PAD) = 0
v_cvt_f32_f16 v[vgprG2Lpipe0], v[vgprG2LB+4]       // 
v_cvt_f32_f16 v[vgprG2Lpipe1], v[vgprG2LB+4], src0_sel:WORD_1 // 
v_pack_b32_f16 v[vgprG2LB+4], v[vgprG2Lpipe0], v[vgprG2Lpipe1], op_sel:[1,1,0] // 
v_cvt_f32_f16 v[vgprG2Lpipe0], v[vgprG2LB+5]       // 
v_cvt_f32_f16 v[vgprG2Lpipe1], v[vgprG2LB+5], src0_sel:WORD_1 // 
v_pack_b32_f16 v[vgprG2LB+5], v[vgprG2Lpipe0], v[vgprG2Lpipe1], op_sel:[1,1,0] // 
	;; [unrolled: 3-line block ×4, first 2 shown]
_ds_store_b128 v[vgprLocalWriteAddrB], v[vgprG2LB+4:vgprG2LB+4+3] offset:128 // lwoB_1_0_0_0 = (1*LSCB) + (0*LSPB)(*MT1J+PAD) = 128
v_cvt_f32_f16 v[vgprG2Lpipe0], v[vgprG2LB+8]       // 
v_cvt_f32_f16 v[vgprG2Lpipe1], v[vgprG2LB+8], src0_sel:WORD_1 // 
v_pack_b32_f16 v[vgprG2LB+8], v[vgprG2Lpipe0], v[vgprG2Lpipe1], op_sel:[1,1,0] // 
v_cvt_f32_f16 v[vgprG2Lpipe0], v[vgprG2LB+9]       // 
v_cvt_f32_f16 v[vgprG2Lpipe1], v[vgprG2LB+9], src0_sel:WORD_1 // 
v_pack_b32_f16 v[vgprG2LB+9], v[vgprG2Lpipe0], v[vgprG2Lpipe1], op_sel:[1,1,0] // 
v_cvt_f32_f16 v[vgprG2Lpipe0], v[vgprG2LB+10]      // 
v_cvt_f32_f16 v[vgprG2Lpipe1], v[vgprG2LB+10], src0_sel:WORD_1 // 
v_pack_b32_f16 v[vgprG2LB+10], v[vgprG2Lpipe0], v[vgprG2Lpipe1], op_sel:[1,1,0] // 
v_cvt_f32_f16 v[vgprG2Lpipe0], v[vgprG2LB+11]      // 
v_cvt_f32_f16 v[vgprG2Lpipe1], v[vgprG2LB+11], src0_sel:WORD_1 // 
v_pack_b32_f16 v[vgprG2LB+11], v[vgprG2Lpipe0], v[vgprG2Lpipe1], op_sel:[1,1,0] // 
_ds_store_b128 v[vgprLocalWriteAddrB], v[vgprG2LB+8:vgprG2LB+8+3] offset:256 // lwoB_2_0_0_0 = (2*LSCB) + (0*LSPB)(*MT1J+PAD) = 256


/* Recalc local read offsets */


s_waitcnt lgkmcnt(0)                               // lgkmcnt=0 vmcnt=-15wait for local write

// Skip force waitcnt0
s_barrier //


/* local read reset offsets a */


/* localReadResetOffsets */
/* handled internally */
v_and_b32 v[vgprLocalReadAddrA], 0x7fff, v[vgprLocalReadAddrA] // reset Red,Blk -> Red


/* local read reset offsets b */


/* localReadResetOffsets */
/* handled internally */
v_and_b32 v[vgprLocalReadAddrB], 0x7fff, v[vgprLocalReadAddrB] // reset Red,Blk -> Red


/* local read init pointers a */


/* localReadInitPointers */


/* local read init pointers b */


/* localReadInitPointers */


/* tail loop: macs */

TailLoopBeginL_6:


/* local read a */

_ds_load_u16 v[vgprValuA_X0_I0+0], v[vgprLocalReadAddrA] offset:0 // L -> Reg lro=0 swapByteOffset=0 ti=64 vIdx=0 rIdx=0 oIdx=0 buffer=0 iui=0
_ds_load_u16_d16_hi v149, v[vgprLocalReadAddrA] offset:256 // L -> Reg lro=0 swapByteOffset=0 ti=64 vIdx=0 rIdx=1 oIdx=0 buffer=0 iui=0
_ds_load_u16 v[vgprValuA_X0_I0+1], v[vgprLocalReadAddrA] offset:512 // L -> Reg lro=0 swapByteOffset=0 ti=64 vIdx=0 rIdx=2 oIdx=0 buffer=0 iui=0
_ds_load_u16_d16_hi v150, v[vgprLocalReadAddrA] offset:768 // L -> Reg lro=0 swapByteOffset=0 ti=64 vIdx=0 rIdx=3 oIdx=0 buffer=0 iui=0
	;; [unrolled: 2-line block ×4, first 2 shown]


/* local read b */

_ds_load_u16 v[vgprValuB_X0_I0+0], v[vgprLocalReadAddrB] offset:0 // L -> Reg lro=0 swapByteOffset=0 ti=64 vIdx=0 rIdx=0 oIdx=0 buffer=0 iui=0
_ds_load_u16_d16_hi v153, v[vgprLocalReadAddrB] offset:384 // L -> Reg lro=0 swapByteOffset=0 ti=64 vIdx=0 rIdx=1 oIdx=0 buffer=0 iui=0
_ds_load_u16 v[vgprValuB_X0_I0+1], v[vgprLocalReadAddrB] offset:768 // L -> Reg lro=0 swapByteOffset=0 ti=64 vIdx=0 rIdx=2 oIdx=0 buffer=0 iui=0
_ds_load_u16_d16_hi v154, v[vgprLocalReadAddrB] offset:1152 // L -> Reg lro=0 swapByteOffset=0 ti=64 vIdx=0 rIdx=3 oIdx=0 buffer=0 iui=0
	;; [unrolled: 2-line block ×6, first 2 shown]


/* local read inc a */

s_mov_b32 s31, 0x800                               // inc
_v_add_co_u32 v[vgprLocalReadAddrA], vcc, s31, v[vgprLocalReadAddrA] // lrA += 2048 (LSU*(MT+PAD)*bpe)


/* local read inc b */

s_mov_b32 s31, 0xc00                               // inc
_v_add_co_u32 v[vgprLocalReadAddrB], vcc, s31, v[vgprLocalReadAddrB] // lrB += 3072 (LSU*(MT+PAD)*bpe)

s_waitcnt lgkmcnt(0)                               // lgkmcnt=0 vmcnt=-14wait for local read

v_or_b32 v[vgprValuA_X0_I0+0], v[vgprValuA_X0_I0+0], v149 // pack two half Vgpr to one Vgpr
v_or_b32 v[vgprValuA_X0_I0+1], v[vgprValuA_X0_I0+1], v150 // pack two half Vgpr to one Vgpr
v_or_b32 v[vgprValuA_X0_I0+2], v[vgprValuA_X0_I0+2], v151 // pack two half Vgpr to one Vgpr
v_or_b32 v[vgprValuA_X0_I0+3], v[vgprValuA_X0_I0+3], v152 // pack two half Vgpr to one Vgpr
v_or_b32 v[vgprValuB_X0_I0+0], v[vgprValuB_X0_I0+0], v153 // pack two half Vgpr to one Vgpr
v_or_b32 v[vgprValuB_X0_I0+1], v[vgprValuB_X0_I0+1], v154 // pack two half Vgpr to one Vgpr
	;; [unrolled: 1-line block ×6, first 2 shown]

s_nop 1
v_mfma_f32_32x32x8bf16_1k v[0+0:15+0], v[vgprValuB_X0_I0+0+0+0:vgprValuB_X0_I0+0+0+0+1], v[vgprValuA_X0_I0+0+0+0:vgprValuA_X0_I0+0+0+0+1], v[0:15]
v_mfma_f32_32x32x8bf16_1k v[16+0:31+0], v[vgprValuB_X0_I0+0+0+0:vgprValuB_X0_I0+0+0+0+1], v[vgprValuA_X0_I0+2+0+0:vgprValuA_X0_I0+2+0+0+1], v[16:31]
	;; [unrolled: 1-line block ×6, first 2 shown]


/* closeLoop loopL finalLoop=1 tailLoop=1 */
s_sub_i32 s[sgprLoopCounterL], s[sgprLoopCounterL], 0x8 // dec counterL (tailLoop)
s_add_u32 s[sgprOrigLoopCounter], s[sgprOrigLoopCounter], 0x8 // inc counterL
s_cmp_le_i32 s[sgprLoopCounterL], 0x0              // counterL<=0
s_cbranch_scc0 TailLoopBeginL_6                    // restart LoopL
TailLoopEndL_7:

SkipTailLoopL_8:

Summation_End_30:
/* endSummation: add vgpr [96...144) to pool */
.set NumFullBlocks, UNDEF
.set WgmRemainder1, UNDEF
.set MagicNumberWgmRemainder1, UNDEF

/* Mapping of Acc register -> C Vgpr register */

/* Multiply MI out register with Alpha -> C Vgpr register */


/* shift vector components d0 */

v_mov_b32 v97, s[sgprWorkGroup0]                   // 
v_mul_i32_i24 v97, -0x80, v97                      // wg*MT
_v_add_co_u32 v97, vcc, s[sgprSizesFree+0], v97    // wgMT = Size - wg*MT
v_mov_b32 v98, 0x80                                // MT
v_min_u32 v97, v98, v97                            // wgMT = (wgMT < MT) ? wgMT : MT
v_lshrrev_b32 v96, 6, v[vgprSerial]                // v96 = v[vgprSerial] / 64
v_and_b32 v99, 1, v96                              // v99 = v96 % 2
v_lshrrev_b32 v96, 5, v97                          // v96 = v97 / 32
v_and_b32 v100, 1, v96                             // v100 = v96 % 2
v_cmp_eq_u32 s[32:33], v100, v99                   // wave_id == block_belong_to_wave?
v_cndmask_b32 v97, v98, v97, s[32:33]              // wgMT = (wgMT < MT) ? wgMT : MT

/* mbReg: which mb block need to shift, mb(matrixInstCoal(32) * VectorWidth(1)) */
v_lshrrev_b32 v98, 5, v97                          // v98 = v97 / 32
v_lshlrev_b32 v100, 0x0, v99                       // v100 = v99 * 1
_v_sub_u32 v98, v98, v100                          // 

/* gbReg: glvw block id */
v_lshrrev_b32 v100, 3, v97                         // v100 = v97 / 8

/* tgbReg: glvw block id */
v_lshrrev_b32 v96, 0, v[vgprSerial]                // v96 = v[vgprSerial] / 1
v_and_b32 v101, 31, v96                            // v101 = v96 % 32
                                                   // v101 = v101 * 1 (multiplier is 1, do nothing)
v_lshrrev_b32 v101, 3, v101                        // v101 = v101 / 8
v_lshlrev_b32 v99, 0x2, v99                        // v99 = v99 * 4
_v_add_co_u32 v101, vcc, v99, v101                 // tgbReg = (tid_coal * continOut) / GLVW
_v_sub_u32 v100, v100, v101                        // 

/* vwReg: glvw in which vw block? */
v_and_b32 v99, 0, v97                              // permute register between threads
v_lshrrev_b32 v99, 3, v99                          // permute register between threads

/* rReg : reminder of M_size % GlobalLoadVectorWidth */
v_and_b32 v101, 7, v97                             // v101 = v97 % 8
v_cmp_eq_u32 vcc, v101, 0x1                        // wgMT%VW == 1
s_cbranch_vccnz label_0031                         // branch to shift d0 r=1
v_cmp_eq_u32 vcc, v101, 0x2                        // wgMT%VW == 2
s_cbranch_vccnz label_0036                         // branch to shift d0 r=2
v_cmp_eq_u32 vcc, v101, 0x3                        // wgMT%VW == 3
s_cbranch_vccnz label_0041                         // branch to shift d0 r=3
v_cmp_eq_u32 vcc, v101, 0x4                        // wgMT%VW == 4
s_cbranch_vccnz label_0046                         // branch to shift d0 r=4
v_cmp_eq_u32 vcc, v101, 0x5                        // wgMT%VW == 5
s_cbranch_vccnz label_0051                         // branch to shift d0 r=5
v_cmp_eq_u32 vcc, v101, 0x6                        // wgMT%VW == 6
s_cbranch_vccnz label_0056                         // branch to shift d0 r=6
v_cmp_eq_u32 vcc, v101, 0x7                        // wgMT%VW == 7
s_cbranch_vccnz label_0061                         // branch to shift d0 r=7
s_branch label_0066                                // no shifting

/******************************************/
/* shift d0 r=1                           */
/******************************************/
label_0031:
v_cmp_eq_u32 vcc, v98, 0x0                         // 
s_cbranch_vccnz label_0032                         // branch to shift d0 r1 mb0
v_cmp_eq_u32 vcc, v98, 0x2                         // 
s_cbranch_vccnz label_0034                         // branch to shift d0 r1 mb1

/******************************************/
/* shift d0 r=2                           */
/******************************************/
label_0036:
v_cmp_eq_u32 vcc, v98, 0x0                         // 
s_cbranch_vccnz label_0037                         // branch to shift d0 r2 mb0
v_cmp_eq_u32 vcc, v98, 0x2                         // 
s_cbranch_vccnz label_0039                         // branch to shift d0 r2 mb1

/******************************************/
/* shift d0 r=3                           */
/******************************************/
label_0041:
v_cmp_eq_u32 vcc, v98, 0x0                         // 
s_cbranch_vccnz label_0042                         // branch to shift d0 r3 mb0
v_cmp_eq_u32 vcc, v98, 0x2                         // 
s_cbranch_vccnz label_0044                         // branch to shift d0 r3 mb1

/******************************************/
/* shift d0 r=4                           */
/******************************************/
label_0046:
v_cmp_eq_u32 vcc, v98, 0x0                         // 
s_cbranch_vccnz label_0047                         // branch to shift d0 r4 mb0
v_cmp_eq_u32 vcc, v98, 0x2                         // 
s_cbranch_vccnz label_0049                         // branch to shift d0 r4 mb1

/******************************************/
/* shift d0 r=5                           */
/******************************************/
label_0051:
v_cmp_eq_u32 vcc, v98, 0x0                         // 
s_cbranch_vccnz label_0052                         // branch to shift d0 r5 mb0
v_cmp_eq_u32 vcc, v98, 0x2                         // 
s_cbranch_vccnz label_0054                         // branch to shift d0 r5 mb1

/******************************************/
/* shift d0 r=6                           */
/******************************************/
label_0056:
v_cmp_eq_u32 vcc, v98, 0x0                         // 
s_cbranch_vccnz label_0057                         // branch to shift d0 r6 mb0
v_cmp_eq_u32 vcc, v98, 0x2                         // 
s_cbranch_vccnz label_0059                         // branch to shift d0 r6 mb1

/******************************************/
/* shift d0 r=7                           */
/******************************************/
label_0061:
v_cmp_eq_u32 vcc, v98, 0x0                         // 
s_cbranch_vccnz label_0062                         // branch to shift d0 r7 mb0
v_cmp_eq_u32 vcc, v98, 0x2                         // 
s_cbranch_vccnz label_0064                         // branch to shift d0 r7 mb1

/******************************************/
/* shift d0 r=1 mb=0                      */
/******************************************/
label_0032: // r1 mb0 
v_cmp_eq_u32 vcc, v99, 0x0                         // 
s_cbranch_vccnz label_0033                         // branch to shift d0 r1 mb0 vw0

/******************************************/
/* shift d0 r=1 mb=1                      */
/******************************************/
label_0034: // r1 mb1 
v_cmp_eq_u32 vcc, v99, 0x0                         // 
s_cbranch_vccnz label_0035                         // branch to shift d0 r1 mb1 vw0

/******************************************/
/* shift d0 r=2 mb=0                      */
/******************************************/
label_0037: // r2 mb0 
v_cmp_eq_u32 vcc, v99, 0x0                         // 
s_cbranch_vccnz label_0038                         // branch to shift d0 r2 mb0 vw0

/******************************************/
/* shift d0 r=2 mb=1                      */
/******************************************/
label_0039: // r2 mb1 
v_cmp_eq_u32 vcc, v99, 0x0                         // 
s_cbranch_vccnz label_0040                         // branch to shift d0 r2 mb1 vw0

/******************************************/
/* shift d0 r=3 mb=0                      */
/******************************************/
label_0042: // r3 mb0 
v_cmp_eq_u32 vcc, v99, 0x0                         // 
s_cbranch_vccnz label_0043                         // branch to shift d0 r3 mb0 vw0

/******************************************/
/* shift d0 r=3 mb=1                      */
/******************************************/
label_0044: // r3 mb1 
v_cmp_eq_u32 vcc, v99, 0x0                         // 
s_cbranch_vccnz label_0045                         // branch to shift d0 r3 mb1 vw0

/******************************************/
/* shift d0 r=4 mb=0                      */
/******************************************/
label_0047: // r4 mb0 
v_cmp_eq_u32 vcc, v99, 0x0                         // 
s_cbranch_vccnz label_0048                         // branch to shift d0 r4 mb0 vw0

/******************************************/
/* shift d0 r=4 mb=1                      */
/******************************************/
label_0049: // r4 mb1 
v_cmp_eq_u32 vcc, v99, 0x0                         // 
s_cbranch_vccnz label_0050                         // branch to shift d0 r4 mb1 vw0

/******************************************/
/* shift d0 r=5 mb=0                      */
/******************************************/
label_0052: // r5 mb0 
v_cmp_eq_u32 vcc, v99, 0x0                         // 
s_cbranch_vccnz label_0053                         // branch to shift d0 r5 mb0 vw0

/******************************************/
/* shift d0 r=5 mb=1                      */
/******************************************/
label_0054: // r5 mb1 
v_cmp_eq_u32 vcc, v99, 0x0                         // 
s_cbranch_vccnz label_0055                         // branch to shift d0 r5 mb1 vw0

/******************************************/
/* shift d0 r=6 mb=0                      */
/******************************************/
label_0057: // r6 mb0 
v_cmp_eq_u32 vcc, v99, 0x0                         // 
s_cbranch_vccnz label_0058                         // branch to shift d0 r6 mb0 vw0

/******************************************/
/* shift d0 r=6 mb=1                      */
/******************************************/
label_0059: // r6 mb1 
v_cmp_eq_u32 vcc, v99, 0x0                         // 
s_cbranch_vccnz label_0060                         // branch to shift d0 r6 mb1 vw0

/******************************************/
/* shift d0 r=7 mb=0                      */
/******************************************/
label_0062: // r7 mb0 
v_cmp_eq_u32 vcc, v99, 0x0                         // 
s_cbranch_vccnz label_0063                         // branch to shift d0 r7 mb0 vw0

/******************************************/
/* shift d0 r=7 mb=1                      */
/******************************************/
label_0064: // r7 mb1 
v_cmp_eq_u32 vcc, v99, 0x0                         // 
s_cbranch_vccnz label_0065                         // branch to shift d0 r7 mb1 vw0

/******************************************/
/* shift d0 r=1 mb=0 vw0                  */
/******************************************/
label_0033: // r1 mb0 vw0 
s_mov_b32 s32, 0                                   // 
_v_cmpx_eq_u32 s[32:33], v100, s32                 // is thread in edge glvw region
v_and_b32 v96, 63, v[vgprSerial]                   // permute register between threads
v_lshlrev_b32 v96, 2, v96                          // permute register between threads
ds_bpermute_b32 v0, v96, v0, offset:28             // permute edge values
s_waitcnt 0                                        // wait for swizzle operation
ds_bpermute_b32 v1, v96, v1, offset:28             // permute edge values
s_waitcnt 0                                        // wait for swizzle operation
	;; [unrolled: 2-line block ×10, first 2 shown]
ds_bpermute_b32 v10, v96, v10, offset:28           // permute edge values
s_waitcnt 0                                        // wait for swizzle operation
ds_bpermute_b32 v11, v96, v11, offset:28           // permute edge values
s_waitcnt 0                                        // wait for swizzle operation
	;; [unrolled: 2-line block ×38, first 2 shown]
s_mov_b64 s[32:33], 0xFFFFFFFFFFFFFFFF             // to restore all threads active
s_or_saveexec_b64 vcc, s[32:33]                    // all threads active
s_branch label_0066                                // done shifting


/******************************************/
/* shift d0 r=1 mb=1 vw0                  */
/******************************************/
label_0035: // r1 mb1 vw0 
s_mov_b32 s32, 8                                   // 
_v_cmpx_eq_u32 s[32:33], v100, s32                 // is thread in edge glvw region
v_and_b32 v96, 63, v[vgprSerial]                   // permute register between threads
v_lshlrev_b32 v96, 2, v96                          // permute register between threads
ds_bpermute_b32 v16, v96, v16, offset:28           // permute edge values
s_waitcnt 0                                        // wait for swizzle operation
ds_bpermute_b32 v17, v96, v17, offset:28           // permute edge values
s_waitcnt 0                                        // wait for swizzle operation
	;; [unrolled: 2-line block ×48, first 2 shown]
s_mov_b64 s[32:33], 0xFFFFFFFFFFFFFFFF             // to restore all threads active
s_or_saveexec_b64 vcc, s[32:33]                    // all threads active
s_branch label_0066                                // done shifting


/******************************************/
/* shift d0 r=2 mb=0 vw0                  */
/******************************************/
label_0038: // r2 mb0 vw0 
s_mov_b32 s32, 0                                   // 
_v_cmpx_eq_u32 s[32:33], v100, s32                 // is thread in edge glvw region
v_and_b32 v96, 63, v[vgprSerial]                   // permute register between threads
v_lshlrev_b32 v96, 2, v96                          // permute register between threads
ds_bpermute_b32 v0, v96, v0, offset:24             // permute edge values
s_waitcnt 0                                        // wait for swizzle operation
ds_bpermute_b32 v1, v96, v1, offset:24             // permute edge values
s_waitcnt 0                                        // wait for swizzle operation
	;; [unrolled: 2-line block ×10, first 2 shown]
ds_bpermute_b32 v10, v96, v10, offset:24           // permute edge values
s_waitcnt 0                                        // wait for swizzle operation
ds_bpermute_b32 v11, v96, v11, offset:24           // permute edge values
s_waitcnt 0                                        // wait for swizzle operation
	;; [unrolled: 2-line block ×38, first 2 shown]
s_mov_b64 s[32:33], 0xFFFFFFFFFFFFFFFF             // to restore all threads active
s_or_saveexec_b64 vcc, s[32:33]                    // all threads active
s_branch label_0066                                // done shifting


/******************************************/
/* shift d0 r=2 mb=1 vw0                  */
/******************************************/
label_0040: // r2 mb1 vw0 
s_mov_b32 s32, 8                                   // 
_v_cmpx_eq_u32 s[32:33], v100, s32                 // is thread in edge glvw region
v_and_b32 v96, 63, v[vgprSerial]                   // permute register between threads
v_lshlrev_b32 v96, 2, v96                          // permute register between threads
ds_bpermute_b32 v16, v96, v16, offset:24           // permute edge values
s_waitcnt 0                                        // wait for swizzle operation
ds_bpermute_b32 v17, v96, v17, offset:24           // permute edge values
s_waitcnt 0                                        // wait for swizzle operation
	;; [unrolled: 2-line block ×48, first 2 shown]
s_mov_b64 s[32:33], 0xFFFFFFFFFFFFFFFF             // to restore all threads active
s_or_saveexec_b64 vcc, s[32:33]                    // all threads active
s_branch label_0066                                // done shifting


/******************************************/
/* shift d0 r=3 mb=0 vw0                  */
/******************************************/
label_0043: // r3 mb0 vw0 
s_mov_b32 s32, 0                                   // 
_v_cmpx_eq_u32 s[32:33], v100, s32                 // is thread in edge glvw region
v_and_b32 v96, 63, v[vgprSerial]                   // permute register between threads
v_lshlrev_b32 v96, 2, v96                          // permute register between threads
ds_bpermute_b32 v0, v96, v0, offset:20             // permute edge values
s_waitcnt 0                                        // wait for swizzle operation
ds_bpermute_b32 v1, v96, v1, offset:20             // permute edge values
s_waitcnt 0                                        // wait for swizzle operation
	;; [unrolled: 2-line block ×10, first 2 shown]
ds_bpermute_b32 v10, v96, v10, offset:20           // permute edge values
s_waitcnt 0                                        // wait for swizzle operation
ds_bpermute_b32 v11, v96, v11, offset:20           // permute edge values
s_waitcnt 0                                        // wait for swizzle operation
	;; [unrolled: 2-line block ×38, first 2 shown]
s_mov_b64 s[32:33], 0xFFFFFFFFFFFFFFFF             // to restore all threads active
s_or_saveexec_b64 vcc, s[32:33]                    // all threads active
s_branch label_0066                                // done shifting


/******************************************/
/* shift d0 r=3 mb=1 vw0                  */
/******************************************/
label_0045: // r3 mb1 vw0 
s_mov_b32 s32, 8                                   // 
_v_cmpx_eq_u32 s[32:33], v100, s32                 // is thread in edge glvw region
v_and_b32 v96, 63, v[vgprSerial]                   // permute register between threads
v_lshlrev_b32 v96, 2, v96                          // permute register between threads
ds_bpermute_b32 v16, v96, v16, offset:20           // permute edge values
s_waitcnt 0                                        // wait for swizzle operation
ds_bpermute_b32 v17, v96, v17, offset:20           // permute edge values
s_waitcnt 0                                        // wait for swizzle operation
ds_bpermute_b32 v18, v96, v18, offset:20           // permute edge values
s_waitcnt 0                                        // wait for swizzle operation
ds_bpermute_b32 v19, v96, v19, offset:20           // permute edge values
s_waitcnt 0                                        // wait for swizzle operation
ds_bpermute_b32 v20, v96, v20, offset:20           // permute edge values
s_waitcnt 0                                        // wait for swizzle operation
ds_bpermute_b32 v21, v96, v21, offset:20           // permute edge values
s_waitcnt 0                                        // wait for swizzle operation
ds_bpermute_b32 v22, v96, v22, offset:20           // permute edge values
s_waitcnt 0                                        // wait for swizzle operation
ds_bpermute_b32 v23, v96, v23, offset:20           // permute edge values
s_waitcnt 0                                        // wait for swizzle operation
ds_bpermute_b32 v24, v96, v24, offset:20           // permute edge values
s_waitcnt 0                                        // wait for swizzle operation
ds_bpermute_b32 v25, v96, v25, offset:20           // permute edge values
s_waitcnt 0                                        // wait for swizzle operation
ds_bpermute_b32 v26, v96, v26, offset:20           // permute edge values
s_waitcnt 0                                        // wait for swizzle operation
ds_bpermute_b32 v27, v96, v27, offset:20           // permute edge values
s_waitcnt 0                                        // wait for swizzle operation
ds_bpermute_b32 v28, v96, v28, offset:20           // permute edge values
s_waitcnt 0                                        // wait for swizzle operation
ds_bpermute_b32 v29, v96, v29, offset:20           // permute edge values
s_waitcnt 0                                        // wait for swizzle operation
ds_bpermute_b32 v30, v96, v30, offset:20           // permute edge values
s_waitcnt 0                                        // wait for swizzle operation
ds_bpermute_b32 v31, v96, v31, offset:20           // permute edge values
s_waitcnt 0                                        // wait for swizzle operation
ds_bpermute_b32 v48, v96, v48, offset:20           // permute edge values
s_waitcnt 0                                        // wait for swizzle operation
ds_bpermute_b32 v49, v96, v49, offset:20           // permute edge values
s_waitcnt 0                                        // wait for swizzle operation
ds_bpermute_b32 v50, v96, v50, offset:20           // permute edge values
s_waitcnt 0                                        // wait for swizzle operation
ds_bpermute_b32 v51, v96, v51, offset:20           // permute edge values
s_waitcnt 0                                        // wait for swizzle operation
ds_bpermute_b32 v52, v96, v52, offset:20           // permute edge values
s_waitcnt 0                                        // wait for swizzle operation
ds_bpermute_b32 v53, v96, v53, offset:20           // permute edge values
s_waitcnt 0                                        // wait for swizzle operation
ds_bpermute_b32 v54, v96, v54, offset:20           // permute edge values
s_waitcnt 0                                        // wait for swizzle operation
ds_bpermute_b32 v55, v96, v55, offset:20           // permute edge values
s_waitcnt 0                                        // wait for swizzle operation
ds_bpermute_b32 v56, v96, v56, offset:20           // permute edge values
s_waitcnt 0                                        // wait for swizzle operation
ds_bpermute_b32 v57, v96, v57, offset:20           // permute edge values
s_waitcnt 0                                        // wait for swizzle operation
ds_bpermute_b32 v58, v96, v58, offset:20           // permute edge values
s_waitcnt 0                                        // wait for swizzle operation
ds_bpermute_b32 v59, v96, v59, offset:20           // permute edge values
s_waitcnt 0                                        // wait for swizzle operation
ds_bpermute_b32 v60, v96, v60, offset:20           // permute edge values
s_waitcnt 0                                        // wait for swizzle operation
ds_bpermute_b32 v61, v96, v61, offset:20           // permute edge values
s_waitcnt 0                                        // wait for swizzle operation
ds_bpermute_b32 v62, v96, v62, offset:20           // permute edge values
s_waitcnt 0                                        // wait for swizzle operation
ds_bpermute_b32 v63, v96, v63, offset:20           // permute edge values
s_waitcnt 0                                        // wait for swizzle operation
ds_bpermute_b32 v80, v96, v80, offset:20           // permute edge values
s_waitcnt 0                                        // wait for swizzle operation
ds_bpermute_b32 v81, v96, v81, offset:20           // permute edge values
s_waitcnt 0                                        // wait for swizzle operation
ds_bpermute_b32 v82, v96, v82, offset:20           // permute edge values
s_waitcnt 0                                        // wait for swizzle operation
ds_bpermute_b32 v83, v96, v83, offset:20           // permute edge values
s_waitcnt 0                                        // wait for swizzle operation
ds_bpermute_b32 v84, v96, v84, offset:20           // permute edge values
s_waitcnt 0                                        // wait for swizzle operation
ds_bpermute_b32 v85, v96, v85, offset:20           // permute edge values
s_waitcnt 0                                        // wait for swizzle operation
ds_bpermute_b32 v86, v96, v86, offset:20           // permute edge values
s_waitcnt 0                                        // wait for swizzle operation
ds_bpermute_b32 v87, v96, v87, offset:20           // permute edge values
s_waitcnt 0                                        // wait for swizzle operation
ds_bpermute_b32 v88, v96, v88, offset:20           // permute edge values
s_waitcnt 0                                        // wait for swizzle operation
ds_bpermute_b32 v89, v96, v89, offset:20           // permute edge values
s_waitcnt 0                                        // wait for swizzle operation
ds_bpermute_b32 v90, v96, v90, offset:20           // permute edge values
s_waitcnt 0                                        // wait for swizzle operation
ds_bpermute_b32 v91, v96, v91, offset:20           // permute edge values
s_waitcnt 0                                        // wait for swizzle operation
ds_bpermute_b32 v92, v96, v92, offset:20           // permute edge values
s_waitcnt 0                                        // wait for swizzle operation
ds_bpermute_b32 v93, v96, v93, offset:20           // permute edge values
s_waitcnt 0                                        // wait for swizzle operation
ds_bpermute_b32 v94, v96, v94, offset:20           // permute edge values
s_waitcnt 0                                        // wait for swizzle operation
ds_bpermute_b32 v95, v96, v95, offset:20           // permute edge values
s_waitcnt 0                                        // wait for swizzle operation
s_mov_b64 s[32:33], 0xFFFFFFFFFFFFFFFF             // to restore all threads active
s_or_saveexec_b64 vcc, s[32:33]                    // all threads active
s_branch label_0066                                // done shifting


/******************************************/
/* shift d0 r=4 mb=0 vw0                  */
/******************************************/
label_0048: // r4 mb0 vw0 
s_mov_b32 s32, 0                                   // 
_v_cmpx_eq_u32 s[32:33], v100, s32                 // is thread in edge glvw region
v_and_b32 v96, 63, v[vgprSerial]                   // permute register between threads
v_lshlrev_b32 v96, 2, v96                          // permute register between threads
ds_bpermute_b32 v0, v96, v0, offset:16             // permute edge values
s_waitcnt 0                                        // wait for swizzle operation
ds_bpermute_b32 v1, v96, v1, offset:16             // permute edge values
s_waitcnt 0                                        // wait for swizzle operation
ds_bpermute_b32 v2, v96, v2, offset:16             // permute edge values
s_waitcnt 0                                        // wait for swizzle operation
ds_bpermute_b32 v3, v96, v3, offset:16             // permute edge values
s_waitcnt 0                                        // wait for swizzle operation
ds_bpermute_b32 v4, v96, v4, offset:16             // permute edge values
s_waitcnt 0                                        // wait for swizzle operation
ds_bpermute_b32 v5, v96, v5, offset:16             // permute edge values
s_waitcnt 0                                        // wait for swizzle operation
ds_bpermute_b32 v6, v96, v6, offset:16             // permute edge values
s_waitcnt 0                                        // wait for swizzle operation
ds_bpermute_b32 v7, v96, v7, offset:16             // permute edge values
s_waitcnt 0                                        // wait for swizzle operation
ds_bpermute_b32 v8, v96, v8, offset:16             // permute edge values
s_waitcnt 0                                        // wait for swizzle operation
ds_bpermute_b32 v9, v96, v9, offset:16             // permute edge values
s_waitcnt 0                                        // wait for swizzle operation
ds_bpermute_b32 v10, v96, v10, offset:16           // permute edge values
s_waitcnt 0                                        // wait for swizzle operation
ds_bpermute_b32 v11, v96, v11, offset:16           // permute edge values
s_waitcnt 0                                        // wait for swizzle operation
	;; [unrolled: 2-line block ×38, first 2 shown]
s_mov_b64 s[32:33], 0xFFFFFFFFFFFFFFFF             // to restore all threads active
s_or_saveexec_b64 vcc, s[32:33]                    // all threads active
s_branch label_0066                                // done shifting


/******************************************/
/* shift d0 r=4 mb=1 vw0                  */
/******************************************/
label_0050: // r4 mb1 vw0 
s_mov_b32 s32, 8                                   // 
_v_cmpx_eq_u32 s[32:33], v100, s32                 // is thread in edge glvw region
v_and_b32 v96, 63, v[vgprSerial]                   // permute register between threads
v_lshlrev_b32 v96, 2, v96                          // permute register between threads
ds_bpermute_b32 v16, v96, v16, offset:16           // permute edge values
s_waitcnt 0                                        // wait for swizzle operation
ds_bpermute_b32 v17, v96, v17, offset:16           // permute edge values
s_waitcnt 0                                        // wait for swizzle operation
	;; [unrolled: 2-line block ×48, first 2 shown]
s_mov_b64 s[32:33], 0xFFFFFFFFFFFFFFFF             // to restore all threads active
s_or_saveexec_b64 vcc, s[32:33]                    // all threads active
s_branch label_0066                                // done shifting


/******************************************/
/* shift d0 r=5 mb=0 vw0                  */
/******************************************/
label_0053: // r5 mb0 vw0 
s_mov_b32 s32, 0                                   // 
_v_cmpx_eq_u32 s[32:33], v100, s32                 // is thread in edge glvw region
v_and_b32 v96, 63, v[vgprSerial]                   // permute register between threads
v_lshlrev_b32 v96, 2, v96                          // permute register between threads
ds_bpermute_b32 v0, v96, v0, offset:12             // permute edge values
s_waitcnt 0                                        // wait for swizzle operation
ds_bpermute_b32 v1, v96, v1, offset:12             // permute edge values
s_waitcnt 0                                        // wait for swizzle operation
ds_bpermute_b32 v2, v96, v2, offset:12             // permute edge values
s_waitcnt 0                                        // wait for swizzle operation
ds_bpermute_b32 v3, v96, v3, offset:12             // permute edge values
s_waitcnt 0                                        // wait for swizzle operation
ds_bpermute_b32 v4, v96, v4, offset:12             // permute edge values
s_waitcnt 0                                        // wait for swizzle operation
ds_bpermute_b32 v5, v96, v5, offset:12             // permute edge values
s_waitcnt 0                                        // wait for swizzle operation
ds_bpermute_b32 v6, v96, v6, offset:12             // permute edge values
s_waitcnt 0                                        // wait for swizzle operation
ds_bpermute_b32 v7, v96, v7, offset:12             // permute edge values
s_waitcnt 0                                        // wait for swizzle operation
ds_bpermute_b32 v8, v96, v8, offset:12             // permute edge values
s_waitcnt 0                                        // wait for swizzle operation
ds_bpermute_b32 v9, v96, v9, offset:12             // permute edge values
s_waitcnt 0                                        // wait for swizzle operation
ds_bpermute_b32 v10, v96, v10, offset:12           // permute edge values
s_waitcnt 0                                        // wait for swizzle operation
ds_bpermute_b32 v11, v96, v11, offset:12           // permute edge values
s_waitcnt 0                                        // wait for swizzle operation
	;; [unrolled: 2-line block ×38, first 2 shown]
s_mov_b64 s[32:33], 0xFFFFFFFFFFFFFFFF             // to restore all threads active
s_or_saveexec_b64 vcc, s[32:33]                    // all threads active
s_branch label_0066                                // done shifting


/******************************************/
/* shift d0 r=5 mb=1 vw0                  */
/******************************************/
label_0055: // r5 mb1 vw0 
s_mov_b32 s32, 8                                   // 
_v_cmpx_eq_u32 s[32:33], v100, s32                 // is thread in edge glvw region
v_and_b32 v96, 63, v[vgprSerial]                   // permute register between threads
v_lshlrev_b32 v96, 2, v96                          // permute register between threads
ds_bpermute_b32 v16, v96, v16, offset:12           // permute edge values
s_waitcnt 0                                        // wait for swizzle operation
ds_bpermute_b32 v17, v96, v17, offset:12           // permute edge values
s_waitcnt 0                                        // wait for swizzle operation
	;; [unrolled: 2-line block ×48, first 2 shown]
s_mov_b64 s[32:33], 0xFFFFFFFFFFFFFFFF             // to restore all threads active
s_or_saveexec_b64 vcc, s[32:33]                    // all threads active
s_branch label_0066                                // done shifting


/******************************************/
/* shift d0 r=6 mb=0 vw0                  */
/******************************************/
label_0058: // r6 mb0 vw0 
s_mov_b32 s32, 0                                   // 
_v_cmpx_eq_u32 s[32:33], v100, s32                 // is thread in edge glvw region
v_and_b32 v96, 63, v[vgprSerial]                   // permute register between threads
v_lshlrev_b32 v96, 2, v96                          // permute register between threads
ds_bpermute_b32 v0, v96, v0, offset:8              // permute edge values
s_waitcnt 0                                        // wait for swizzle operation
ds_bpermute_b32 v1, v96, v1, offset:8              // permute edge values
s_waitcnt 0                                        // wait for swizzle operation
	;; [unrolled: 2-line block ×10, first 2 shown]
ds_bpermute_b32 v10, v96, v10, offset:8            // permute edge values
s_waitcnt 0                                        // wait for swizzle operation
ds_bpermute_b32 v11, v96, v11, offset:8            // permute edge values
s_waitcnt 0                                        // wait for swizzle operation
	;; [unrolled: 2-line block ×38, first 2 shown]
s_mov_b64 s[32:33], 0xFFFFFFFFFFFFFFFF             // to restore all threads active
s_or_saveexec_b64 vcc, s[32:33]                    // all threads active
s_branch label_0066                                // done shifting


/******************************************/
/* shift d0 r=6 mb=1 vw0                  */
/******************************************/
label_0060: // r6 mb1 vw0 
s_mov_b32 s32, 8                                   // 
_v_cmpx_eq_u32 s[32:33], v100, s32                 // is thread in edge glvw region
v_and_b32 v96, 63, v[vgprSerial]                   // permute register between threads
v_lshlrev_b32 v96, 2, v96                          // permute register between threads
ds_bpermute_b32 v16, v96, v16, offset:8            // permute edge values
s_waitcnt 0                                        // wait for swizzle operation
ds_bpermute_b32 v17, v96, v17, offset:8            // permute edge values
s_waitcnt 0                                        // wait for swizzle operation
	;; [unrolled: 2-line block ×48, first 2 shown]
s_mov_b64 s[32:33], 0xFFFFFFFFFFFFFFFF             // to restore all threads active
s_or_saveexec_b64 vcc, s[32:33]                    // all threads active
s_branch label_0066                                // done shifting


/******************************************/
/* shift d0 r=7 mb=0 vw0                  */
/******************************************/
label_0063: // r7 mb0 vw0 
s_mov_b32 s32, 0                                   // 
_v_cmpx_eq_u32 s[32:33], v100, s32                 // is thread in edge glvw region
v_and_b32 v96, 63, v[vgprSerial]                   // permute register between threads
v_lshlrev_b32 v96, 2, v96                          // permute register between threads
ds_bpermute_b32 v0, v96, v0, offset:4              // permute edge values
s_waitcnt 0                                        // wait for swizzle operation
ds_bpermute_b32 v1, v96, v1, offset:4              // permute edge values
s_waitcnt 0                                        // wait for swizzle operation
ds_bpermute_b32 v2, v96, v2, offset:4              // permute edge values
s_waitcnt 0                                        // wait for swizzle operation
ds_bpermute_b32 v3, v96, v3, offset:4              // permute edge values
s_waitcnt 0                                        // wait for swizzle operation
ds_bpermute_b32 v4, v96, v4, offset:4              // permute edge values
s_waitcnt 0                                        // wait for swizzle operation
ds_bpermute_b32 v5, v96, v5, offset:4              // permute edge values
s_waitcnt 0                                        // wait for swizzle operation
ds_bpermute_b32 v6, v96, v6, offset:4              // permute edge values
s_waitcnt 0                                        // wait for swizzle operation
ds_bpermute_b32 v7, v96, v7, offset:4              // permute edge values
s_waitcnt 0                                        // wait for swizzle operation
ds_bpermute_b32 v8, v96, v8, offset:4              // permute edge values
s_waitcnt 0                                        // wait for swizzle operation
ds_bpermute_b32 v9, v96, v9, offset:4              // permute edge values
s_waitcnt 0                                        // wait for swizzle operation
ds_bpermute_b32 v10, v96, v10, offset:4            // permute edge values
s_waitcnt 0                                        // wait for swizzle operation
ds_bpermute_b32 v11, v96, v11, offset:4            // permute edge values
s_waitcnt 0                                        // wait for swizzle operation
	;; [unrolled: 2-line block ×38, first 2 shown]
s_mov_b64 s[32:33], 0xFFFFFFFFFFFFFFFF             // to restore all threads active
s_or_saveexec_b64 vcc, s[32:33]                    // all threads active
s_branch label_0066                                // done shifting


/******************************************/
/* shift d0 r=7 mb=1 vw0                  */
/******************************************/
label_0065: // r7 mb1 vw0 
s_mov_b32 s32, 8                                   // 
_v_cmpx_eq_u32 s[32:33], v100, s32                 // is thread in edge glvw region
v_and_b32 v96, 63, v[vgprSerial]                   // permute register between threads
v_lshlrev_b32 v96, 2, v96                          // permute register between threads
ds_bpermute_b32 v16, v96, v16, offset:4            // permute edge values
s_waitcnt 0                                        // wait for swizzle operation
ds_bpermute_b32 v17, v96, v17, offset:4            // permute edge values
s_waitcnt 0                                        // wait for swizzle operation
	;; [unrolled: 2-line block ×48, first 2 shown]
s_mov_b64 s[32:33], 0xFFFFFFFFFFFFFFFF             // to restore all threads active
s_or_saveexec_b64 vcc, s[32:33]                    // all threads active
s_branch label_0066                                // done shifting

label_0066: // end shift0


/* shift vector components d1 */

v_mov_b32 v97, s[sgprWorkGroup1]                   // 
v_mul_i32_i24 v97, -0xc0, v97                      // wg*MT
_v_add_co_u32 v97, vcc, s[sgprSizesFree+1], v97    // wgMT = Size - wg*MT
v_mov_b32 v98, 0xc0                                // MT
v_min_u32 v97, v98, v97                            // wgMT = (wgMT < MT) ? wgMT : MT
v_lshrrev_b32 v96, 7, v[vgprSerial]                // v96 = v[vgprSerial] / 128
v_and_b32 v99, 1, v96                              // v99 = v96 % 2
v_lshrrev_b32 v96, 5, v97                          // v96 = v97 / 32
v_and_b32 v100, 1, v96                             // v100 = v96 % 2
v_cmp_eq_u32 s[32:33], v100, v99                   // wave_id == block_belong_to_wave?
v_cndmask_b32 v97, v98, v97, s[32:33]              // wgMT = (wgMT < MT) ? wgMT : MT

/* mbReg: which mb block need to shift, mb(matrixInstCoal(32) * VectorWidth(1)) */
v_lshrrev_b32 v98, 3, v97                          // v98 = v97 / 8
v_lshlrev_b32 v100, 0x2, v99                       // v100 = v99 * 4
_v_sub_u32 v98, v98, v100                          // 

/* gbReg: glvw block id */
v_lshrrev_b32 v100, 3, v97                         // v100 = v97 / 8

/* tgbReg: glvw block id */
v_lshrrev_b32 v96, 5, v[vgprSerial]                // v96 = v[vgprSerial] / 32
v_and_b32 v101, 1, v96                             // v101 = v96 % 2
v_lshlrev_b32 v101, 0x2, v101                      // v101 = v101 * 4
v_lshrrev_b32 v101, 3, v101                        // v101 = v101 / 8
v_lshlrev_b32 v99, 0x2, v99                        // v99 = v99 * 4
_v_add_co_u32 v101, vcc, v99, v101                 // tgbReg = (tid_coal * continOut) / GLVW
_v_sub_u32 v100, v100, v101                        // 

/* vwReg: glvw in which vw block? */
v_and_b32 v99, 3, v97                              // permute register between threads
v_lshrrev_b32 v99, 3, v99                          // permute register between threads

/* rReg : reminder of M_size % GlobalLoadVectorWidth */
v_and_b32 v101, 7, v97                             // v101 = v97 % 8
v_cmp_eq_u32 vcc, v101, 0x1                        // wgMT%VW == 1
s_cbranch_vccnz label_0071                         // branch to shift d1 r=1
v_cmp_eq_u32 vcc, v101, 0x2                        // wgMT%VW == 2
s_cbranch_vccnz label_0096                         // branch to shift d1 r=2
v_cmp_eq_u32 vcc, v101, 0x3                        // wgMT%VW == 3
s_cbranch_vccnz label_0121                         // branch to shift d1 r=3
v_cmp_eq_u32 vcc, v101, 0x4                        // wgMT%VW == 4
s_cbranch_vccnz label_0146                         // branch to shift d1 r=4
v_cmp_eq_u32 vcc, v101, 0x5                        // wgMT%VW == 5
s_cbranch_vccnz label_0171                         // branch to shift d1 r=5
v_cmp_eq_u32 vcc, v101, 0x6                        // wgMT%VW == 6
s_cbranch_vccnz label_0196                         // branch to shift d1 r=6
v_cmp_eq_u32 vcc, v101, 0x7                        // wgMT%VW == 7
s_cbranch_vccnz label_0221                         // branch to shift d1 r=7
s_branch label_0246                                // no shifting

/******************************************/
/* shift d1 r=1                           */
/******************************************/
label_0071:
v_cmp_eq_u32 vcc, v98, 0x0                         // 
s_cbranch_vccnz label_0072                         // branch to shift d1 r1 mb0
v_cmp_eq_u32 vcc, v98, 0x1                         // 
s_cbranch_vccnz label_0074                         // branch to shift d1 r1 mb1
v_cmp_eq_u32 vcc, v98, 0x2                         // 
s_cbranch_vccnz label_0076                         // branch to shift d1 r1 mb2
v_cmp_eq_u32 vcc, v98, 0x3                         // 
s_cbranch_vccnz label_0078                         // branch to shift d1 r1 mb3
v_cmp_eq_u32 vcc, v98, 0x8                         // 
s_cbranch_vccnz label_0080                         // branch to shift d1 r1 mb4
v_cmp_eq_u32 vcc, v98, 0x9                         // 
s_cbranch_vccnz label_0082                         // branch to shift d1 r1 mb5
v_cmp_eq_u32 vcc, v98, 0xa                         // 
s_cbranch_vccnz label_0084                         // branch to shift d1 r1 mb6
v_cmp_eq_u32 vcc, v98, 0xb                         // 
s_cbranch_vccnz label_0086                         // branch to shift d1 r1 mb7
v_cmp_eq_u32 vcc, v98, 0x10                        // 
s_cbranch_vccnz label_0088                         // branch to shift d1 r1 mb8
v_cmp_eq_u32 vcc, v98, 0x11                        // 
s_cbranch_vccnz label_0090                         // branch to shift d1 r1 mb9
v_cmp_eq_u32 vcc, v98, 0x12                        // 
s_cbranch_vccnz label_0092                         // branch to shift d1 r1 mb10
v_cmp_eq_u32 vcc, v98, 0x13                        // 
s_cbranch_vccnz label_0094                         // branch to shift d1 r1 mb11

/******************************************/
/* shift d1 r=2                           */
/******************************************/
label_0096:
v_cmp_eq_u32 vcc, v98, 0x0                         // 
s_cbranch_vccnz label_0097                         // branch to shift d1 r2 mb0
v_cmp_eq_u32 vcc, v98, 0x1                         // 
s_cbranch_vccnz label_0099                         // branch to shift d1 r2 mb1
v_cmp_eq_u32 vcc, v98, 0x2                         // 
s_cbranch_vccnz label_0101                         // branch to shift d1 r2 mb2
v_cmp_eq_u32 vcc, v98, 0x3                         // 
s_cbranch_vccnz label_0103                         // branch to shift d1 r2 mb3
v_cmp_eq_u32 vcc, v98, 0x8                         // 
s_cbranch_vccnz label_0105                         // branch to shift d1 r2 mb4
v_cmp_eq_u32 vcc, v98, 0x9                         // 
s_cbranch_vccnz label_0107                         // branch to shift d1 r2 mb5
v_cmp_eq_u32 vcc, v98, 0xa                         // 
s_cbranch_vccnz label_0109                         // branch to shift d1 r2 mb6
v_cmp_eq_u32 vcc, v98, 0xb                         // 
s_cbranch_vccnz label_0111                         // branch to shift d1 r2 mb7
v_cmp_eq_u32 vcc, v98, 0x10                        // 
s_cbranch_vccnz label_0113                         // branch to shift d1 r2 mb8
v_cmp_eq_u32 vcc, v98, 0x11                        // 
s_cbranch_vccnz label_0115                         // branch to shift d1 r2 mb9
v_cmp_eq_u32 vcc, v98, 0x12                        // 
s_cbranch_vccnz label_0117                         // branch to shift d1 r2 mb10
v_cmp_eq_u32 vcc, v98, 0x13                        // 
s_cbranch_vccnz label_0119                         // branch to shift d1 r2 mb11

/******************************************/
/* shift d1 r=3                           */
/******************************************/
label_0121:
v_cmp_eq_u32 vcc, v98, 0x0                         // 
s_cbranch_vccnz label_0122                         // branch to shift d1 r3 mb0
v_cmp_eq_u32 vcc, v98, 0x1                         // 
s_cbranch_vccnz label_0124                         // branch to shift d1 r3 mb1
v_cmp_eq_u32 vcc, v98, 0x2                         // 
s_cbranch_vccnz label_0126                         // branch to shift d1 r3 mb2
v_cmp_eq_u32 vcc, v98, 0x3                         // 
s_cbranch_vccnz label_0128                         // branch to shift d1 r3 mb3
v_cmp_eq_u32 vcc, v98, 0x8                         // 
s_cbranch_vccnz label_0130                         // branch to shift d1 r3 mb4
v_cmp_eq_u32 vcc, v98, 0x9                         // 
s_cbranch_vccnz label_0132                         // branch to shift d1 r3 mb5
v_cmp_eq_u32 vcc, v98, 0xa                         // 
s_cbranch_vccnz label_0134                         // branch to shift d1 r3 mb6
v_cmp_eq_u32 vcc, v98, 0xb                         // 
s_cbranch_vccnz label_0136                         // branch to shift d1 r3 mb7
v_cmp_eq_u32 vcc, v98, 0x10                        // 
s_cbranch_vccnz label_0138                         // branch to shift d1 r3 mb8
v_cmp_eq_u32 vcc, v98, 0x11                        // 
s_cbranch_vccnz label_0140                         // branch to shift d1 r3 mb9
v_cmp_eq_u32 vcc, v98, 0x12                        // 
s_cbranch_vccnz label_0142                         // branch to shift d1 r3 mb10
v_cmp_eq_u32 vcc, v98, 0x13                        // 
s_cbranch_vccnz label_0144                         // branch to shift d1 r3 mb11

/******************************************/
/* shift d1 r=4                           */
/******************************************/
label_0146:
v_cmp_eq_u32 vcc, v98, 0x0                         // 
s_cbranch_vccnz label_0147                         // branch to shift d1 r4 mb0
v_cmp_eq_u32 vcc, v98, 0x1                         // 
s_cbranch_vccnz label_0149                         // branch to shift d1 r4 mb1
v_cmp_eq_u32 vcc, v98, 0x2                         // 
s_cbranch_vccnz label_0151                         // branch to shift d1 r4 mb2
v_cmp_eq_u32 vcc, v98, 0x3                         // 
s_cbranch_vccnz label_0153                         // branch to shift d1 r4 mb3
v_cmp_eq_u32 vcc, v98, 0x8                         // 
s_cbranch_vccnz label_0155                         // branch to shift d1 r4 mb4
v_cmp_eq_u32 vcc, v98, 0x9                         // 
s_cbranch_vccnz label_0157                         // branch to shift d1 r4 mb5
v_cmp_eq_u32 vcc, v98, 0xa                         // 
s_cbranch_vccnz label_0159                         // branch to shift d1 r4 mb6
v_cmp_eq_u32 vcc, v98, 0xb                         // 
s_cbranch_vccnz label_0161                         // branch to shift d1 r4 mb7
v_cmp_eq_u32 vcc, v98, 0x10                        // 
s_cbranch_vccnz label_0163                         // branch to shift d1 r4 mb8
v_cmp_eq_u32 vcc, v98, 0x11                        // 
s_cbranch_vccnz label_0165                         // branch to shift d1 r4 mb9
v_cmp_eq_u32 vcc, v98, 0x12                        // 
s_cbranch_vccnz label_0167                         // branch to shift d1 r4 mb10
v_cmp_eq_u32 vcc, v98, 0x13                        // 
s_cbranch_vccnz label_0169                         // branch to shift d1 r4 mb11

/******************************************/
/* shift d1 r=5                           */
/******************************************/
label_0171:
v_cmp_eq_u32 vcc, v98, 0x0                         // 
s_cbranch_vccnz label_0172                         // branch to shift d1 r5 mb0
v_cmp_eq_u32 vcc, v98, 0x1                         // 
s_cbranch_vccnz label_0174                         // branch to shift d1 r5 mb1
v_cmp_eq_u32 vcc, v98, 0x2                         // 
s_cbranch_vccnz label_0176                         // branch to shift d1 r5 mb2
v_cmp_eq_u32 vcc, v98, 0x3                         // 
s_cbranch_vccnz label_0178                         // branch to shift d1 r5 mb3
v_cmp_eq_u32 vcc, v98, 0x8                         // 
s_cbranch_vccnz label_0180                         // branch to shift d1 r5 mb4
v_cmp_eq_u32 vcc, v98, 0x9                         // 
s_cbranch_vccnz label_0182                         // branch to shift d1 r5 mb5
v_cmp_eq_u32 vcc, v98, 0xa                         // 
s_cbranch_vccnz label_0184                         // branch to shift d1 r5 mb6
v_cmp_eq_u32 vcc, v98, 0xb                         // 
s_cbranch_vccnz label_0186                         // branch to shift d1 r5 mb7
v_cmp_eq_u32 vcc, v98, 0x10                        // 
s_cbranch_vccnz label_0188                         // branch to shift d1 r5 mb8
v_cmp_eq_u32 vcc, v98, 0x11                        // 
s_cbranch_vccnz label_0190                         // branch to shift d1 r5 mb9
v_cmp_eq_u32 vcc, v98, 0x12                        // 
s_cbranch_vccnz label_0192                         // branch to shift d1 r5 mb10
v_cmp_eq_u32 vcc, v98, 0x13                        // 
s_cbranch_vccnz label_0194                         // branch to shift d1 r5 mb11

/******************************************/
/* shift d1 r=6                           */
/******************************************/
label_0196:
v_cmp_eq_u32 vcc, v98, 0x0                         // 
s_cbranch_vccnz label_0197                         // branch to shift d1 r6 mb0
v_cmp_eq_u32 vcc, v98, 0x1                         // 
s_cbranch_vccnz label_0199                         // branch to shift d1 r6 mb1
v_cmp_eq_u32 vcc, v98, 0x2                         // 
s_cbranch_vccnz label_0201                         // branch to shift d1 r6 mb2
v_cmp_eq_u32 vcc, v98, 0x3                         // 
s_cbranch_vccnz label_0203                         // branch to shift d1 r6 mb3
v_cmp_eq_u32 vcc, v98, 0x8                         // 
s_cbranch_vccnz label_0205                         // branch to shift d1 r6 mb4
v_cmp_eq_u32 vcc, v98, 0x9                         // 
s_cbranch_vccnz label_0207                         // branch to shift d1 r6 mb5
v_cmp_eq_u32 vcc, v98, 0xa                         // 
s_cbranch_vccnz label_0209                         // branch to shift d1 r6 mb6
v_cmp_eq_u32 vcc, v98, 0xb                         // 
s_cbranch_vccnz label_0211                         // branch to shift d1 r6 mb7
v_cmp_eq_u32 vcc, v98, 0x10                        // 
s_cbranch_vccnz label_0213                         // branch to shift d1 r6 mb8
v_cmp_eq_u32 vcc, v98, 0x11                        // 
s_cbranch_vccnz label_0215                         // branch to shift d1 r6 mb9
v_cmp_eq_u32 vcc, v98, 0x12                        // 
s_cbranch_vccnz label_0217                         // branch to shift d1 r6 mb10
v_cmp_eq_u32 vcc, v98, 0x13                        // 
s_cbranch_vccnz label_0219                         // branch to shift d1 r6 mb11

/******************************************/
/* shift d1 r=7                           */
/******************************************/
label_0221:
v_cmp_eq_u32 vcc, v98, 0x0                         // 
s_cbranch_vccnz label_0222                         // branch to shift d1 r7 mb0
v_cmp_eq_u32 vcc, v98, 0x1                         // 
s_cbranch_vccnz label_0224                         // branch to shift d1 r7 mb1
v_cmp_eq_u32 vcc, v98, 0x2                         // 
s_cbranch_vccnz label_0226                         // branch to shift d1 r7 mb2
v_cmp_eq_u32 vcc, v98, 0x3                         // 
s_cbranch_vccnz label_0228                         // branch to shift d1 r7 mb3
v_cmp_eq_u32 vcc, v98, 0x8                         // 
s_cbranch_vccnz label_0230                         // branch to shift d1 r7 mb4
v_cmp_eq_u32 vcc, v98, 0x9                         // 
s_cbranch_vccnz label_0232                         // branch to shift d1 r7 mb5
v_cmp_eq_u32 vcc, v98, 0xa                         // 
s_cbranch_vccnz label_0234                         // branch to shift d1 r7 mb6
v_cmp_eq_u32 vcc, v98, 0xb                         // 
s_cbranch_vccnz label_0236                         // branch to shift d1 r7 mb7
v_cmp_eq_u32 vcc, v98, 0x10                        // 
s_cbranch_vccnz label_0238                         // branch to shift d1 r7 mb8
v_cmp_eq_u32 vcc, v98, 0x11                        // 
s_cbranch_vccnz label_0240                         // branch to shift d1 r7 mb9
v_cmp_eq_u32 vcc, v98, 0x12                        // 
s_cbranch_vccnz label_0242                         // branch to shift d1 r7 mb10
v_cmp_eq_u32 vcc, v98, 0x13                        // 
s_cbranch_vccnz label_0244                         // branch to shift d1 r7 mb11

/******************************************/
/* shift d1 r=1 mb=0                      */
/******************************************/
label_0072: // r1 mb0 
v_cmp_eq_u32 vcc, v99, 0x0                         // 
s_cbranch_vccnz label_0073                         // branch to shift d1 r1 mb0 vw0

/******************************************/
/* shift d1 r=1 mb=1                      */
/******************************************/
label_0074: // r1 mb1 
v_cmp_eq_u32 vcc, v99, 0x0                         // 
s_cbranch_vccnz label_0075                         // branch to shift d1 r1 mb1 vw0

/******************************************/
/* shift d1 r=1 mb=2                      */
/******************************************/
label_0076: // r1 mb2 
v_cmp_eq_u32 vcc, v99, 0x0                         // 
s_cbranch_vccnz label_0077                         // branch to shift d1 r1 mb2 vw0

/******************************************/
/* shift d1 r=1 mb=3                      */
/******************************************/
label_0078: // r1 mb3 
v_cmp_eq_u32 vcc, v99, 0x0                         // 
s_cbranch_vccnz label_0079                         // branch to shift d1 r1 mb3 vw0

/******************************************/
/* shift d1 r=1 mb=4                      */
/******************************************/
label_0080: // r1 mb4 
v_cmp_eq_u32 vcc, v99, 0x0                         // 
s_cbranch_vccnz label_0081                         // branch to shift d1 r1 mb4 vw0

/******************************************/
/* shift d1 r=1 mb=5                      */
/******************************************/
label_0082: // r1 mb5 
v_cmp_eq_u32 vcc, v99, 0x0                         // 
s_cbranch_vccnz label_0083                         // branch to shift d1 r1 mb5 vw0

/******************************************/
/* shift d1 r=1 mb=6                      */
/******************************************/
label_0084: // r1 mb6 
v_cmp_eq_u32 vcc, v99, 0x0                         // 
s_cbranch_vccnz label_0085                         // branch to shift d1 r1 mb6 vw0

/******************************************/
/* shift d1 r=1 mb=7                      */
/******************************************/
label_0086: // r1 mb7 
v_cmp_eq_u32 vcc, v99, 0x0                         // 
s_cbranch_vccnz label_0087                         // branch to shift d1 r1 mb7 vw0

/******************************************/
/* shift d1 r=1 mb=8                      */
/******************************************/
label_0088: // r1 mb8 
v_cmp_eq_u32 vcc, v99, 0x0                         // 
s_cbranch_vccnz label_0089                         // branch to shift d1 r1 mb8 vw0

/******************************************/
/* shift d1 r=1 mb=9                      */
/******************************************/
label_0090: // r1 mb9 
v_cmp_eq_u32 vcc, v99, 0x0                         // 
s_cbranch_vccnz label_0091                         // branch to shift d1 r1 mb9 vw0

/******************************************/
/* shift d1 r=1 mb=10                     */
/******************************************/
label_0092: // r1 mb10 
v_cmp_eq_u32 vcc, v99, 0x0                         // 
s_cbranch_vccnz label_0093                         // branch to shift d1 r1 mb10 vw0

/******************************************/
/* shift d1 r=1 mb=11                     */
/******************************************/
label_0094: // r1 mb11 
v_cmp_eq_u32 vcc, v99, 0x0                         // 
s_cbranch_vccnz label_0095                         // branch to shift d1 r1 mb11 vw0

/******************************************/
/* shift d1 r=2 mb=0                      */
/******************************************/
label_0097: // r2 mb0 
v_cmp_eq_u32 vcc, v99, 0x0                         // 
s_cbranch_vccnz label_0098                         // branch to shift d1 r2 mb0 vw0

/******************************************/
/* shift d1 r=2 mb=1                      */
/******************************************/
label_0099: // r2 mb1 
v_cmp_eq_u32 vcc, v99, 0x0                         // 
s_cbranch_vccnz label_0100                         // branch to shift d1 r2 mb1 vw0

/******************************************/
/* shift d1 r=2 mb=2                      */
/******************************************/
label_0101: // r2 mb2 
v_cmp_eq_u32 vcc, v99, 0x0                         // 
s_cbranch_vccnz label_0102                         // branch to shift d1 r2 mb2 vw0

/******************************************/
/* shift d1 r=2 mb=3                      */
/******************************************/
label_0103: // r2 mb3 
v_cmp_eq_u32 vcc, v99, 0x0                         // 
s_cbranch_vccnz label_0104                         // branch to shift d1 r2 mb3 vw0

/******************************************/
/* shift d1 r=2 mb=4                      */
/******************************************/
label_0105: // r2 mb4 
v_cmp_eq_u32 vcc, v99, 0x0                         // 
s_cbranch_vccnz label_0106                         // branch to shift d1 r2 mb4 vw0

/******************************************/
/* shift d1 r=2 mb=5                      */
/******************************************/
label_0107: // r2 mb5 
v_cmp_eq_u32 vcc, v99, 0x0                         // 
s_cbranch_vccnz label_0108                         // branch to shift d1 r2 mb5 vw0

/******************************************/
/* shift d1 r=2 mb=6                      */
/******************************************/
label_0109: // r2 mb6 
v_cmp_eq_u32 vcc, v99, 0x0                         // 
s_cbranch_vccnz label_0110                         // branch to shift d1 r2 mb6 vw0

/******************************************/
/* shift d1 r=2 mb=7                      */
/******************************************/
label_0111: // r2 mb7 
v_cmp_eq_u32 vcc, v99, 0x0                         // 
s_cbranch_vccnz label_0112                         // branch to shift d1 r2 mb7 vw0

/******************************************/
/* shift d1 r=2 mb=8                      */
/******************************************/
label_0113: // r2 mb8 
v_cmp_eq_u32 vcc, v99, 0x0                         // 
s_cbranch_vccnz label_0114                         // branch to shift d1 r2 mb8 vw0

/******************************************/
/* shift d1 r=2 mb=9                      */
/******************************************/
label_0115: // r2 mb9 
v_cmp_eq_u32 vcc, v99, 0x0                         // 
s_cbranch_vccnz label_0116                         // branch to shift d1 r2 mb9 vw0

/******************************************/
/* shift d1 r=2 mb=10                     */
/******************************************/
label_0117: // r2 mb10 
v_cmp_eq_u32 vcc, v99, 0x0                         // 
s_cbranch_vccnz label_0118                         // branch to shift d1 r2 mb10 vw0

/******************************************/
/* shift d1 r=2 mb=11                     */
/******************************************/
label_0119: // r2 mb11 
v_cmp_eq_u32 vcc, v99, 0x0                         // 
s_cbranch_vccnz label_0120                         // branch to shift d1 r2 mb11 vw0

/******************************************/
/* shift d1 r=3 mb=0                      */
/******************************************/
label_0122: // r3 mb0 
v_cmp_eq_u32 vcc, v99, 0x0                         // 
s_cbranch_vccnz label_0123                         // branch to shift d1 r3 mb0 vw0

/******************************************/
/* shift d1 r=3 mb=1                      */
/******************************************/
label_0124: // r3 mb1 
v_cmp_eq_u32 vcc, v99, 0x0                         // 
s_cbranch_vccnz label_0125                         // branch to shift d1 r3 mb1 vw0

/******************************************/
/* shift d1 r=3 mb=2                      */
/******************************************/
label_0126: // r3 mb2 
v_cmp_eq_u32 vcc, v99, 0x0                         // 
s_cbranch_vccnz label_0127                         // branch to shift d1 r3 mb2 vw0

/******************************************/
/* shift d1 r=3 mb=3                      */
/******************************************/
label_0128: // r3 mb3 
v_cmp_eq_u32 vcc, v99, 0x0                         // 
s_cbranch_vccnz label_0129                         // branch to shift d1 r3 mb3 vw0

/******************************************/
/* shift d1 r=3 mb=4                      */
/******************************************/
label_0130: // r3 mb4 
v_cmp_eq_u32 vcc, v99, 0x0                         // 
s_cbranch_vccnz label_0131                         // branch to shift d1 r3 mb4 vw0

/******************************************/
/* shift d1 r=3 mb=5                      */
/******************************************/
label_0132: // r3 mb5 
v_cmp_eq_u32 vcc, v99, 0x0                         // 
s_cbranch_vccnz label_0133                         // branch to shift d1 r3 mb5 vw0

/******************************************/
/* shift d1 r=3 mb=6                      */
/******************************************/
label_0134: // r3 mb6 
v_cmp_eq_u32 vcc, v99, 0x0                         // 
s_cbranch_vccnz label_0135                         // branch to shift d1 r3 mb6 vw0

/******************************************/
/* shift d1 r=3 mb=7                      */
/******************************************/
label_0136: // r3 mb7 
v_cmp_eq_u32 vcc, v99, 0x0                         // 
s_cbranch_vccnz label_0137                         // branch to shift d1 r3 mb7 vw0

/******************************************/
/* shift d1 r=3 mb=8                      */
/******************************************/
label_0138: // r3 mb8 
v_cmp_eq_u32 vcc, v99, 0x0                         // 
s_cbranch_vccnz label_0139                         // branch to shift d1 r3 mb8 vw0

/******************************************/
/* shift d1 r=3 mb=9                      */
/******************************************/
label_0140: // r3 mb9 
v_cmp_eq_u32 vcc, v99, 0x0                         // 
s_cbranch_vccnz label_0141                         // branch to shift d1 r3 mb9 vw0

/******************************************/
/* shift d1 r=3 mb=10                     */
/******************************************/
label_0142: // r3 mb10 
v_cmp_eq_u32 vcc, v99, 0x0                         // 
s_cbranch_vccnz label_0143                         // branch to shift d1 r3 mb10 vw0

/******************************************/
/* shift d1 r=3 mb=11                     */
/******************************************/
label_0144: // r3 mb11 
v_cmp_eq_u32 vcc, v99, 0x0                         // 
s_cbranch_vccnz label_0145                         // branch to shift d1 r3 mb11 vw0

/******************************************/
/* shift d1 r=4 mb=0                      */
/******************************************/
label_0147: // r4 mb0 
v_cmp_eq_u32 vcc, v99, 0x0                         // 
s_cbranch_vccnz label_0148                         // branch to shift d1 r4 mb0 vw0

/******************************************/
/* shift d1 r=4 mb=1                      */
/******************************************/
label_0149: // r4 mb1 
v_cmp_eq_u32 vcc, v99, 0x0                         // 
s_cbranch_vccnz label_0150                         // branch to shift d1 r4 mb1 vw0

/******************************************/
/* shift d1 r=4 mb=2                      */
/******************************************/
label_0151: // r4 mb2 
v_cmp_eq_u32 vcc, v99, 0x0                         // 
s_cbranch_vccnz label_0152                         // branch to shift d1 r4 mb2 vw0

/******************************************/
/* shift d1 r=4 mb=3                      */
/******************************************/
label_0153: // r4 mb3 
v_cmp_eq_u32 vcc, v99, 0x0                         // 
s_cbranch_vccnz label_0154                         // branch to shift d1 r4 mb3 vw0

/******************************************/
/* shift d1 r=4 mb=4                      */
/******************************************/
label_0155: // r4 mb4 
v_cmp_eq_u32 vcc, v99, 0x0                         // 
s_cbranch_vccnz label_0156                         // branch to shift d1 r4 mb4 vw0

/******************************************/
/* shift d1 r=4 mb=5                      */
/******************************************/
label_0157: // r4 mb5 
v_cmp_eq_u32 vcc, v99, 0x0                         // 
s_cbranch_vccnz label_0158                         // branch to shift d1 r4 mb5 vw0

/******************************************/
/* shift d1 r=4 mb=6                      */
/******************************************/
label_0159: // r4 mb6 
v_cmp_eq_u32 vcc, v99, 0x0                         // 
s_cbranch_vccnz label_0160                         // branch to shift d1 r4 mb6 vw0

/******************************************/
/* shift d1 r=4 mb=7                      */
/******************************************/
label_0161: // r4 mb7 
v_cmp_eq_u32 vcc, v99, 0x0                         // 
s_cbranch_vccnz label_0162                         // branch to shift d1 r4 mb7 vw0

/******************************************/
/* shift d1 r=4 mb=8                      */
/******************************************/
label_0163: // r4 mb8 
v_cmp_eq_u32 vcc, v99, 0x0                         // 
s_cbranch_vccnz label_0164                         // branch to shift d1 r4 mb8 vw0

/******************************************/
/* shift d1 r=4 mb=9                      */
/******************************************/
label_0165: // r4 mb9 
v_cmp_eq_u32 vcc, v99, 0x0                         // 
s_cbranch_vccnz label_0166                         // branch to shift d1 r4 mb9 vw0

/******************************************/
/* shift d1 r=4 mb=10                     */
/******************************************/
label_0167: // r4 mb10 
v_cmp_eq_u32 vcc, v99, 0x0                         // 
s_cbranch_vccnz label_0168                         // branch to shift d1 r4 mb10 vw0

/******************************************/
/* shift d1 r=4 mb=11                     */
/******************************************/
label_0169: // r4 mb11 
v_cmp_eq_u32 vcc, v99, 0x0                         // 
s_cbranch_vccnz label_0170                         // branch to shift d1 r4 mb11 vw0

/******************************************/
/* shift d1 r=5 mb=0                      */
/******************************************/
label_0172: // r5 mb0 
v_cmp_eq_u32 vcc, v99, 0x0                         // 
s_cbranch_vccnz label_0173                         // branch to shift d1 r5 mb0 vw0

/******************************************/
/* shift d1 r=5 mb=1                      */
/******************************************/
label_0174: // r5 mb1 
v_cmp_eq_u32 vcc, v99, 0x0                         // 
s_cbranch_vccnz label_0175                         // branch to shift d1 r5 mb1 vw0

/******************************************/
/* shift d1 r=5 mb=2                      */
/******************************************/
label_0176: // r5 mb2 
v_cmp_eq_u32 vcc, v99, 0x0                         // 
s_cbranch_vccnz label_0177                         // branch to shift d1 r5 mb2 vw0

/******************************************/
/* shift d1 r=5 mb=3                      */
/******************************************/
label_0178: // r5 mb3 
v_cmp_eq_u32 vcc, v99, 0x0                         // 
s_cbranch_vccnz label_0179                         // branch to shift d1 r5 mb3 vw0

/******************************************/
/* shift d1 r=5 mb=4                      */
/******************************************/
label_0180: // r5 mb4 
v_cmp_eq_u32 vcc, v99, 0x0                         // 
s_cbranch_vccnz label_0181                         // branch to shift d1 r5 mb4 vw0

/******************************************/
/* shift d1 r=5 mb=5                      */
/******************************************/
label_0182: // r5 mb5 
v_cmp_eq_u32 vcc, v99, 0x0                         // 
s_cbranch_vccnz label_0183                         // branch to shift d1 r5 mb5 vw0

/******************************************/
/* shift d1 r=5 mb=6                      */
/******************************************/
label_0184: // r5 mb6 
v_cmp_eq_u32 vcc, v99, 0x0                         // 
s_cbranch_vccnz label_0185                         // branch to shift d1 r5 mb6 vw0

/******************************************/
/* shift d1 r=5 mb=7                      */
/******************************************/
label_0186: // r5 mb7 
v_cmp_eq_u32 vcc, v99, 0x0                         // 
s_cbranch_vccnz label_0187                         // branch to shift d1 r5 mb7 vw0

/******************************************/
/* shift d1 r=5 mb=8                      */
/******************************************/
label_0188: // r5 mb8 
v_cmp_eq_u32 vcc, v99, 0x0                         // 
s_cbranch_vccnz label_0189                         // branch to shift d1 r5 mb8 vw0

/******************************************/
/* shift d1 r=5 mb=9                      */
/******************************************/
label_0190: // r5 mb9 
v_cmp_eq_u32 vcc, v99, 0x0                         // 
s_cbranch_vccnz label_0191                         // branch to shift d1 r5 mb9 vw0

/******************************************/
/* shift d1 r=5 mb=10                     */
/******************************************/
label_0192: // r5 mb10 
v_cmp_eq_u32 vcc, v99, 0x0                         // 
s_cbranch_vccnz label_0193                         // branch to shift d1 r5 mb10 vw0

/******************************************/
/* shift d1 r=5 mb=11                     */
/******************************************/
label_0194: // r5 mb11 
v_cmp_eq_u32 vcc, v99, 0x0                         // 
s_cbranch_vccnz label_0195                         // branch to shift d1 r5 mb11 vw0

/******************************************/
/* shift d1 r=6 mb=0                      */
/******************************************/
label_0197: // r6 mb0 
v_cmp_eq_u32 vcc, v99, 0x0                         // 
s_cbranch_vccnz label_0198                         // branch to shift d1 r6 mb0 vw0

/******************************************/
/* shift d1 r=6 mb=1                      */
/******************************************/
label_0199: // r6 mb1 
v_cmp_eq_u32 vcc, v99, 0x0                         // 
s_cbranch_vccnz label_0200                         // branch to shift d1 r6 mb1 vw0

/******************************************/
/* shift d1 r=6 mb=2                      */
/******************************************/
label_0201: // r6 mb2 
v_cmp_eq_u32 vcc, v99, 0x0                         // 
s_cbranch_vccnz label_0202                         // branch to shift d1 r6 mb2 vw0

/******************************************/
/* shift d1 r=6 mb=3                      */
/******************************************/
label_0203: // r6 mb3 
v_cmp_eq_u32 vcc, v99, 0x0                         // 
s_cbranch_vccnz label_0204                         // branch to shift d1 r6 mb3 vw0

/******************************************/
/* shift d1 r=6 mb=4                      */
/******************************************/
label_0205: // r6 mb4 
v_cmp_eq_u32 vcc, v99, 0x0                         // 
s_cbranch_vccnz label_0206                         // branch to shift d1 r6 mb4 vw0

/******************************************/
/* shift d1 r=6 mb=5                      */
/******************************************/
label_0207: // r6 mb5 
v_cmp_eq_u32 vcc, v99, 0x0                         // 
s_cbranch_vccnz label_0208                         // branch to shift d1 r6 mb5 vw0

/******************************************/
/* shift d1 r=6 mb=6                      */
/******************************************/
label_0209: // r6 mb6 
v_cmp_eq_u32 vcc, v99, 0x0                         // 
s_cbranch_vccnz label_0210                         // branch to shift d1 r6 mb6 vw0

/******************************************/
/* shift d1 r=6 mb=7                      */
/******************************************/
label_0211: // r6 mb7 
v_cmp_eq_u32 vcc, v99, 0x0                         // 
s_cbranch_vccnz label_0212                         // branch to shift d1 r6 mb7 vw0

/******************************************/
/* shift d1 r=6 mb=8                      */
/******************************************/
label_0213: // r6 mb8 
v_cmp_eq_u32 vcc, v99, 0x0                         // 
s_cbranch_vccnz label_0214                         // branch to shift d1 r6 mb8 vw0

/******************************************/
/* shift d1 r=6 mb=9                      */
/******************************************/
label_0215: // r6 mb9 
v_cmp_eq_u32 vcc, v99, 0x0                         // 
s_cbranch_vccnz label_0216                         // branch to shift d1 r6 mb9 vw0

/******************************************/
/* shift d1 r=6 mb=10                     */
/******************************************/
label_0217: // r6 mb10 
v_cmp_eq_u32 vcc, v99, 0x0                         // 
s_cbranch_vccnz label_0218                         // branch to shift d1 r6 mb10 vw0

/******************************************/
/* shift d1 r=6 mb=11                     */
/******************************************/
label_0219: // r6 mb11 
v_cmp_eq_u32 vcc, v99, 0x0                         // 
s_cbranch_vccnz label_0220                         // branch to shift d1 r6 mb11 vw0

/******************************************/
/* shift d1 r=7 mb=0                      */
/******************************************/
label_0222: // r7 mb0 
v_cmp_eq_u32 vcc, v99, 0x0                         // 
s_cbranch_vccnz label_0223                         // branch to shift d1 r7 mb0 vw0

/******************************************/
/* shift d1 r=7 mb=1                      */
/******************************************/
label_0224: // r7 mb1 
v_cmp_eq_u32 vcc, v99, 0x0                         // 
s_cbranch_vccnz label_0225                         // branch to shift d1 r7 mb1 vw0

/******************************************/
/* shift d1 r=7 mb=2                      */
/******************************************/
label_0226: // r7 mb2 
v_cmp_eq_u32 vcc, v99, 0x0                         // 
s_cbranch_vccnz label_0227                         // branch to shift d1 r7 mb2 vw0

/******************************************/
/* shift d1 r=7 mb=3                      */
/******************************************/
label_0228: // r7 mb3 
v_cmp_eq_u32 vcc, v99, 0x0                         // 
s_cbranch_vccnz label_0229                         // branch to shift d1 r7 mb3 vw0

/******************************************/
/* shift d1 r=7 mb=4                      */
/******************************************/
label_0230: // r7 mb4 
v_cmp_eq_u32 vcc, v99, 0x0                         // 
s_cbranch_vccnz label_0231                         // branch to shift d1 r7 mb4 vw0

/******************************************/
/* shift d1 r=7 mb=5                      */
/******************************************/
label_0232: // r7 mb5 
v_cmp_eq_u32 vcc, v99, 0x0                         // 
s_cbranch_vccnz label_0233                         // branch to shift d1 r7 mb5 vw0

/******************************************/
/* shift d1 r=7 mb=6                      */
/******************************************/
label_0234: // r7 mb6 
v_cmp_eq_u32 vcc, v99, 0x0                         // 
s_cbranch_vccnz label_0235                         // branch to shift d1 r7 mb6 vw0

/******************************************/
/* shift d1 r=7 mb=7                      */
/******************************************/
label_0236: // r7 mb7 
v_cmp_eq_u32 vcc, v99, 0x0                         // 
s_cbranch_vccnz label_0237                         // branch to shift d1 r7 mb7 vw0

/******************************************/
/* shift d1 r=7 mb=8                      */
/******************************************/
label_0238: // r7 mb8 
v_cmp_eq_u32 vcc, v99, 0x0                         // 
s_cbranch_vccnz label_0239                         // branch to shift d1 r7 mb8 vw0

/******************************************/
/* shift d1 r=7 mb=9                      */
/******************************************/
label_0240: // r7 mb9 
v_cmp_eq_u32 vcc, v99, 0x0                         // 
s_cbranch_vccnz label_0241                         // branch to shift d1 r7 mb9 vw0

/******************************************/
/* shift d1 r=7 mb=10                     */
/******************************************/
label_0242: // r7 mb10 
v_cmp_eq_u32 vcc, v99, 0x0                         // 
s_cbranch_vccnz label_0243                         // branch to shift d1 r7 mb10 vw0

/******************************************/
/* shift d1 r=7 mb=11                     */
/******************************************/
label_0244: // r7 mb11 
v_cmp_eq_u32 vcc, v99, 0x0                         // 
s_cbranch_vccnz label_0245                         // branch to shift d1 r7 mb11 vw0

/******************************************/
/* shift d1 r=1 mb=0 vw0                  */
/******************************************/
label_0073: // r1 mb0 vw0 
s_mov_b32 s32, 0                                   // 
_v_cmpx_eq_u32 s[32:33], v100, s32                 // is thread in edge glvw region
v_and_b32 v96, 63, v[vgprSerial]                   // permute register between threads
v_lshlrev_b32 v96, 2, v96                          // permute register between threads
v_mov_b32 v101, v3                                 // glvw 1 mb 0 tt1 0 r 0
ds_bpermute_b32 v101, v96, v101, offset:128        // permute edge values
s_waitcnt 0                                        // wait for swizzle operation
v_mov_b32 v0, v101                                 // 
v_mov_b32 v101, v19                                // glvw 1 mb 0 tt1 1 r 0
ds_bpermute_b32 v101, v96, v101, offset:128        // permute edge values
s_waitcnt 0                                        // wait for swizzle operation
v_mov_b32 v16, v101                                // 
s_mov_b64 s[32:33], 0xFFFFFFFFFFFFFFFF             // to restore all threads active
s_or_saveexec_b64 vcc, s[32:33]                    // all threads active
s_branch label_0246                                // done shifting


/******************************************/
/* shift d1 r=1 mb=1 vw0                  */
/******************************************/
label_0075: // r1 mb1 vw0 
s_mov_b32 s32, 1                                   // 
_v_cmpx_eq_u32 s[32:33], v100, s32                 // is thread in edge glvw region
v_and_b32 v96, 63, v[vgprSerial]                   // permute register between threads
v_lshlrev_b32 v96, 2, v96                          // permute register between threads
v_mov_b32 v101, v7                                 // glvw 1 mb 1 tt1 0 r 0
ds_bpermute_b32 v101, v96, v101, offset:128        // permute edge values
s_waitcnt 0                                        // wait for swizzle operation
v_mov_b32 v4, v101                                 // 
v_mov_b32 v101, v23                                // glvw 1 mb 1 tt1 1 r 0
ds_bpermute_b32 v101, v96, v101, offset:128        // permute edge values
s_waitcnt 0                                        // wait for swizzle operation
v_mov_b32 v20, v101                                // 
s_mov_b64 s[32:33], 0xFFFFFFFFFFFFFFFF             // to restore all threads active
s_or_saveexec_b64 vcc, s[32:33]                    // all threads active
s_branch label_0246                                // done shifting


/******************************************/
/* shift d1 r=1 mb=2 vw0                  */
/******************************************/
label_0077: // r1 mb2 vw0 
s_mov_b32 s32, 2                                   // 
_v_cmpx_eq_u32 s[32:33], v100, s32                 // is thread in edge glvw region
v_and_b32 v96, 63, v[vgprSerial]                   // permute register between threads
v_lshlrev_b32 v96, 2, v96                          // permute register between threads
v_mov_b32 v101, v11                                // glvw 1 mb 2 tt1 0 r 0
ds_bpermute_b32 v101, v96, v101, offset:128        // permute edge values
s_waitcnt 0                                        // wait for swizzle operation
v_mov_b32 v8, v101                                 // 
v_mov_b32 v101, v27                                // glvw 1 mb 2 tt1 1 r 0
ds_bpermute_b32 v101, v96, v101, offset:128        // permute edge values
s_waitcnt 0                                        // wait for swizzle operation
v_mov_b32 v24, v101                                // 
s_mov_b64 s[32:33], 0xFFFFFFFFFFFFFFFF             // to restore all threads active
s_or_saveexec_b64 vcc, s[32:33]                    // all threads active
s_branch label_0246                                // done shifting


/******************************************/
/* shift d1 r=1 mb=3 vw0                  */
/******************************************/
label_0079: // r1 mb3 vw0 
s_mov_b32 s32, 3                                   // 
_v_cmpx_eq_u32 s[32:33], v100, s32                 // is thread in edge glvw region
v_and_b32 v96, 63, v[vgprSerial]                   // permute register between threads
v_lshlrev_b32 v96, 2, v96                          // permute register between threads
v_mov_b32 v101, v15                                // glvw 1 mb 3 tt1 0 r 0
ds_bpermute_b32 v101, v96, v101, offset:128        // permute edge values
s_waitcnt 0                                        // wait for swizzle operation
v_mov_b32 v12, v101                                // 
v_mov_b32 v101, v31                                // glvw 1 mb 3 tt1 1 r 0
ds_bpermute_b32 v101, v96, v101, offset:128        // permute edge values
s_waitcnt 0                                        // wait for swizzle operation
v_mov_b32 v28, v101                                // 
s_mov_b64 s[32:33], 0xFFFFFFFFFFFFFFFF             // to restore all threads active
s_or_saveexec_b64 vcc, s[32:33]                    // all threads active
s_branch label_0246                                // done shifting


/******************************************/
/* shift d1 r=1 mb=4 vw0                  */
/******************************************/
label_0081: // r1 mb4 vw0 
s_mov_b32 s32, 8                                   // 
_v_cmpx_eq_u32 s[32:33], v100, s32                 // is thread in edge glvw region
v_and_b32 v96, 63, v[vgprSerial]                   // permute register between threads
v_lshlrev_b32 v96, 2, v96                          // permute register between threads
v_mov_b32 v101, v35                                // glvw 1 mb 4 tt1 0 r 0
ds_bpermute_b32 v101, v96, v101, offset:128        // permute edge values
s_waitcnt 0                                        // wait for swizzle operation
v_mov_b32 v32, v101                                // 
v_mov_b32 v101, v51                                // glvw 1 mb 4 tt1 1 r 0
ds_bpermute_b32 v101, v96, v101, offset:128        // permute edge values
s_waitcnt 0                                        // wait for swizzle operation
v_mov_b32 v48, v101                                // 
s_mov_b64 s[32:33], 0xFFFFFFFFFFFFFFFF             // to restore all threads active
s_or_saveexec_b64 vcc, s[32:33]                    // all threads active
s_branch label_0246                                // done shifting


/******************************************/
/* shift d1 r=1 mb=5 vw0                  */
/******************************************/
label_0083: // r1 mb5 vw0 
s_mov_b32 s32, 9                                   // 
_v_cmpx_eq_u32 s[32:33], v100, s32                 // is thread in edge glvw region
v_and_b32 v96, 63, v[vgprSerial]                   // permute register between threads
v_lshlrev_b32 v96, 2, v96                          // permute register between threads
v_mov_b32 v101, v39                                // glvw 1 mb 5 tt1 0 r 0
ds_bpermute_b32 v101, v96, v101, offset:128        // permute edge values
s_waitcnt 0                                        // wait for swizzle operation
v_mov_b32 v36, v101                                // 
v_mov_b32 v101, v55                                // glvw 1 mb 5 tt1 1 r 0
ds_bpermute_b32 v101, v96, v101, offset:128        // permute edge values
s_waitcnt 0                                        // wait for swizzle operation
v_mov_b32 v52, v101                                // 
s_mov_b64 s[32:33], 0xFFFFFFFFFFFFFFFF             // to restore all threads active
s_or_saveexec_b64 vcc, s[32:33]                    // all threads active
s_branch label_0246                                // done shifting


/******************************************/
/* shift d1 r=1 mb=6 vw0                  */
/******************************************/
label_0085: // r1 mb6 vw0 
s_mov_b32 s32, 10                                  // 
_v_cmpx_eq_u32 s[32:33], v100, s32                 // is thread in edge glvw region
v_and_b32 v96, 63, v[vgprSerial]                   // permute register between threads
v_lshlrev_b32 v96, 2, v96                          // permute register between threads
v_mov_b32 v101, v43                                // glvw 1 mb 6 tt1 0 r 0
ds_bpermute_b32 v101, v96, v101, offset:128        // permute edge values
s_waitcnt 0                                        // wait for swizzle operation
v_mov_b32 v40, v101                                // 
v_mov_b32 v101, v59                                // glvw 1 mb 6 tt1 1 r 0
ds_bpermute_b32 v101, v96, v101, offset:128        // permute edge values
s_waitcnt 0                                        // wait for swizzle operation
v_mov_b32 v56, v101                                // 
s_mov_b64 s[32:33], 0xFFFFFFFFFFFFFFFF             // to restore all threads active
s_or_saveexec_b64 vcc, s[32:33]                    // all threads active
s_branch label_0246                                // done shifting


/******************************************/
/* shift d1 r=1 mb=7 vw0                  */
/******************************************/
label_0087: // r1 mb7 vw0 
s_mov_b32 s32, 11                                  // 
_v_cmpx_eq_u32 s[32:33], v100, s32                 // is thread in edge glvw region
v_and_b32 v96, 63, v[vgprSerial]                   // permute register between threads
v_lshlrev_b32 v96, 2, v96                          // permute register between threads
v_mov_b32 v101, v47                                // glvw 1 mb 7 tt1 0 r 0
ds_bpermute_b32 v101, v96, v101, offset:128        // permute edge values
s_waitcnt 0                                        // wait for swizzle operation
v_mov_b32 v44, v101                                // 
v_mov_b32 v101, v63                                // glvw 1 mb 7 tt1 1 r 0
ds_bpermute_b32 v101, v96, v101, offset:128        // permute edge values
s_waitcnt 0                                        // wait for swizzle operation
v_mov_b32 v60, v101                                // 
s_mov_b64 s[32:33], 0xFFFFFFFFFFFFFFFF             // to restore all threads active
s_or_saveexec_b64 vcc, s[32:33]                    // all threads active
s_branch label_0246                                // done shifting


/******************************************/
/* shift d1 r=1 mb=8 vw0                  */
/******************************************/
label_0089: // r1 mb8 vw0 
s_mov_b32 s32, 16                                  // 
_v_cmpx_eq_u32 s[32:33], v100, s32                 // is thread in edge glvw region
v_and_b32 v96, 63, v[vgprSerial]                   // permute register between threads
v_lshlrev_b32 v96, 2, v96                          // permute register between threads
v_mov_b32 v101, v67                                // glvw 1 mb 8 tt1 0 r 0
ds_bpermute_b32 v101, v96, v101, offset:128        // permute edge values
s_waitcnt 0                                        // wait for swizzle operation
v_mov_b32 v64, v101                                // 
v_mov_b32 v101, v83                                // glvw 1 mb 8 tt1 1 r 0
ds_bpermute_b32 v101, v96, v101, offset:128        // permute edge values
s_waitcnt 0                                        // wait for swizzle operation
v_mov_b32 v80, v101                                // 
s_mov_b64 s[32:33], 0xFFFFFFFFFFFFFFFF             // to restore all threads active
s_or_saveexec_b64 vcc, s[32:33]                    // all threads active
s_branch label_0246                                // done shifting


/******************************************/
/* shift d1 r=1 mb=9 vw0                  */
/******************************************/
label_0091: // r1 mb9 vw0 
s_mov_b32 s32, 17                                  // 
_v_cmpx_eq_u32 s[32:33], v100, s32                 // is thread in edge glvw region
v_and_b32 v96, 63, v[vgprSerial]                   // permute register between threads
v_lshlrev_b32 v96, 2, v96                          // permute register between threads
v_mov_b32 v101, v71                                // glvw 1 mb 9 tt1 0 r 0
ds_bpermute_b32 v101, v96, v101, offset:128        // permute edge values
s_waitcnt 0                                        // wait for swizzle operation
v_mov_b32 v68, v101                                // 
v_mov_b32 v101, v87                                // glvw 1 mb 9 tt1 1 r 0
ds_bpermute_b32 v101, v96, v101, offset:128        // permute edge values
s_waitcnt 0                                        // wait for swizzle operation
v_mov_b32 v84, v101                                // 
s_mov_b64 s[32:33], 0xFFFFFFFFFFFFFFFF             // to restore all threads active
s_or_saveexec_b64 vcc, s[32:33]                    // all threads active
s_branch label_0246                                // done shifting


/******************************************/
/* shift d1 r=1 mb=10 vw0                 */
/******************************************/
label_0093: // r1 mb10 vw0 
s_mov_b32 s32, 18                                  // 
_v_cmpx_eq_u32 s[32:33], v100, s32                 // is thread in edge glvw region
v_and_b32 v96, 63, v[vgprSerial]                   // permute register between threads
v_lshlrev_b32 v96, 2, v96                          // permute register between threads
v_mov_b32 v101, v75                                // glvw 1 mb 10 tt1 0 r 0
ds_bpermute_b32 v101, v96, v101, offset:128        // permute edge values
s_waitcnt 0                                        // wait for swizzle operation
v_mov_b32 v72, v101                                // 
v_mov_b32 v101, v91                                // glvw 1 mb 10 tt1 1 r 0
ds_bpermute_b32 v101, v96, v101, offset:128        // permute edge values
s_waitcnt 0                                        // wait for swizzle operation
v_mov_b32 v88, v101                                // 
s_mov_b64 s[32:33], 0xFFFFFFFFFFFFFFFF             // to restore all threads active
s_or_saveexec_b64 vcc, s[32:33]                    // all threads active
s_branch label_0246                                // done shifting


/******************************************/
/* shift d1 r=1 mb=11 vw0                 */
/******************************************/
label_0095: // r1 mb11 vw0 
s_mov_b32 s32, 19                                  // 
_v_cmpx_eq_u32 s[32:33], v100, s32                 // is thread in edge glvw region
v_and_b32 v96, 63, v[vgprSerial]                   // permute register between threads
v_lshlrev_b32 v96, 2, v96                          // permute register between threads
v_mov_b32 v101, v79                                // glvw 1 mb 11 tt1 0 r 0
ds_bpermute_b32 v101, v96, v101, offset:128        // permute edge values
s_waitcnt 0                                        // wait for swizzle operation
v_mov_b32 v76, v101                                // 
v_mov_b32 v101, v95                                // glvw 1 mb 11 tt1 1 r 0
ds_bpermute_b32 v101, v96, v101, offset:128        // permute edge values
s_waitcnt 0                                        // wait for swizzle operation
v_mov_b32 v92, v101                                // 
s_mov_b64 s[32:33], 0xFFFFFFFFFFFFFFFF             // to restore all threads active
s_or_saveexec_b64 vcc, s[32:33]                    // all threads active
s_branch label_0246                                // done shifting


/******************************************/
/* shift d1 r=2 mb=0 vw0                  */
/******************************************/
label_0098: // r2 mb0 vw0 
s_mov_b32 s32, 0                                   // 
_v_cmpx_eq_u32 s[32:33], v100, s32                 // is thread in edge glvw region
v_and_b32 v96, 63, v[vgprSerial]                   // permute register between threads
v_lshlrev_b32 v96, 2, v96                          // permute register between threads
v_mov_b32 v101, v2                                 // glvw 2 mb 0 tt1 0 r 0
v_mov_b32 v102, v3                                 // glvw 2 mb 0 tt1 0 r 0
ds_bpermute_b32 v101, v96, v101, offset:128        // permute edge values
ds_bpermute_b32 v102, v96, v102, offset:128        // permute edge values
s_waitcnt 0                                        // wait for swizzle operation
v_mov_b32 v0, v101                                 // 
v_mov_b32 v1, v102                                 // 
v_mov_b32 v101, v18                                // glvw 2 mb 0 tt1 1 r 0
v_mov_b32 v102, v19                                // glvw 2 mb 0 tt1 1 r 0
ds_bpermute_b32 v101, v96, v101, offset:128        // permute edge values
ds_bpermute_b32 v102, v96, v102, offset:128        // permute edge values
s_waitcnt 0                                        // wait for swizzle operation
v_mov_b32 v16, v101                                // 
v_mov_b32 v17, v102                                // 
s_mov_b64 s[32:33], 0xFFFFFFFFFFFFFFFF             // to restore all threads active
s_or_saveexec_b64 vcc, s[32:33]                    // all threads active
s_branch label_0246                                // done shifting


/******************************************/
/* shift d1 r=2 mb=1 vw0                  */
/******************************************/
label_0100: // r2 mb1 vw0 
s_mov_b32 s32, 1                                   // 
_v_cmpx_eq_u32 s[32:33], v100, s32                 // is thread in edge glvw region
v_and_b32 v96, 63, v[vgprSerial]                   // permute register between threads
v_lshlrev_b32 v96, 2, v96                          // permute register between threads
v_mov_b32 v101, v6                                 // glvw 2 mb 1 tt1 0 r 0
v_mov_b32 v102, v7                                 // glvw 2 mb 1 tt1 0 r 0
ds_bpermute_b32 v101, v96, v101, offset:128        // permute edge values
ds_bpermute_b32 v102, v96, v102, offset:128        // permute edge values
s_waitcnt 0                                        // wait for swizzle operation
v_mov_b32 v4, v101                                 // 
v_mov_b32 v5, v102                                 // 
v_mov_b32 v101, v22                                // glvw 2 mb 1 tt1 1 r 0
v_mov_b32 v102, v23                                // glvw 2 mb 1 tt1 1 r 0
ds_bpermute_b32 v101, v96, v101, offset:128        // permute edge values
ds_bpermute_b32 v102, v96, v102, offset:128        // permute edge values
s_waitcnt 0                                        // wait for swizzle operation
v_mov_b32 v20, v101                                // 
v_mov_b32 v21, v102                                // 
s_mov_b64 s[32:33], 0xFFFFFFFFFFFFFFFF             // to restore all threads active
s_or_saveexec_b64 vcc, s[32:33]                    // all threads active
s_branch label_0246                                // done shifting


/******************************************/
/* shift d1 r=2 mb=2 vw0                  */
/******************************************/
label_0102: // r2 mb2 vw0 
s_mov_b32 s32, 2                                   // 
_v_cmpx_eq_u32 s[32:33], v100, s32                 // is thread in edge glvw region
v_and_b32 v96, 63, v[vgprSerial]                   // permute register between threads
v_lshlrev_b32 v96, 2, v96                          // permute register between threads
v_mov_b32 v101, v10                                // glvw 2 mb 2 tt1 0 r 0
v_mov_b32 v102, v11                                // glvw 2 mb 2 tt1 0 r 0
ds_bpermute_b32 v101, v96, v101, offset:128        // permute edge values
ds_bpermute_b32 v102, v96, v102, offset:128        // permute edge values
s_waitcnt 0                                        // wait for swizzle operation
v_mov_b32 v8, v101                                 // 
v_mov_b32 v9, v102                                 // 
v_mov_b32 v101, v26                                // glvw 2 mb 2 tt1 1 r 0
v_mov_b32 v102, v27                                // glvw 2 mb 2 tt1 1 r 0
ds_bpermute_b32 v101, v96, v101, offset:128        // permute edge values
ds_bpermute_b32 v102, v96, v102, offset:128        // permute edge values
s_waitcnt 0                                        // wait for swizzle operation
v_mov_b32 v24, v101                                // 
v_mov_b32 v25, v102                                // 
s_mov_b64 s[32:33], 0xFFFFFFFFFFFFFFFF             // to restore all threads active
s_or_saveexec_b64 vcc, s[32:33]                    // all threads active
s_branch label_0246                                // done shifting


/******************************************/
/* shift d1 r=2 mb=3 vw0                  */
/******************************************/
label_0104: // r2 mb3 vw0 
s_mov_b32 s32, 3                                   // 
_v_cmpx_eq_u32 s[32:33], v100, s32                 // is thread in edge glvw region
v_and_b32 v96, 63, v[vgprSerial]                   // permute register between threads
v_lshlrev_b32 v96, 2, v96                          // permute register between threads
v_mov_b32 v101, v14                                // glvw 2 mb 3 tt1 0 r 0
v_mov_b32 v102, v15                                // glvw 2 mb 3 tt1 0 r 0
ds_bpermute_b32 v101, v96, v101, offset:128        // permute edge values
ds_bpermute_b32 v102, v96, v102, offset:128        // permute edge values
s_waitcnt 0                                        // wait for swizzle operation
v_mov_b32 v12, v101                                // 
v_mov_b32 v13, v102                                // 
v_mov_b32 v101, v30                                // glvw 2 mb 3 tt1 1 r 0
v_mov_b32 v102, v31                                // glvw 2 mb 3 tt1 1 r 0
ds_bpermute_b32 v101, v96, v101, offset:128        // permute edge values
ds_bpermute_b32 v102, v96, v102, offset:128        // permute edge values
s_waitcnt 0                                        // wait for swizzle operation
v_mov_b32 v28, v101                                // 
v_mov_b32 v29, v102                                // 
s_mov_b64 s[32:33], 0xFFFFFFFFFFFFFFFF             // to restore all threads active
s_or_saveexec_b64 vcc, s[32:33]                    // all threads active
s_branch label_0246                                // done shifting


/******************************************/
/* shift d1 r=2 mb=4 vw0                  */
/******************************************/
label_0106: // r2 mb4 vw0 
s_mov_b32 s32, 8                                   // 
_v_cmpx_eq_u32 s[32:33], v100, s32                 // is thread in edge glvw region
v_and_b32 v96, 63, v[vgprSerial]                   // permute register between threads
v_lshlrev_b32 v96, 2, v96                          // permute register between threads
v_mov_b32 v101, v34                                // glvw 2 mb 4 tt1 0 r 0
v_mov_b32 v102, v35                                // glvw 2 mb 4 tt1 0 r 0
ds_bpermute_b32 v101, v96, v101, offset:128        // permute edge values
ds_bpermute_b32 v102, v96, v102, offset:128        // permute edge values
s_waitcnt 0                                        // wait for swizzle operation
v_mov_b32 v32, v101                                // 
v_mov_b32 v33, v102                                // 
v_mov_b32 v101, v50                                // glvw 2 mb 4 tt1 1 r 0
v_mov_b32 v102, v51                                // glvw 2 mb 4 tt1 1 r 0
ds_bpermute_b32 v101, v96, v101, offset:128        // permute edge values
ds_bpermute_b32 v102, v96, v102, offset:128        // permute edge values
s_waitcnt 0                                        // wait for swizzle operation
v_mov_b32 v48, v101                                // 
v_mov_b32 v49, v102                                // 
s_mov_b64 s[32:33], 0xFFFFFFFFFFFFFFFF             // to restore all threads active
s_or_saveexec_b64 vcc, s[32:33]                    // all threads active
s_branch label_0246                                // done shifting


/******************************************/
/* shift d1 r=2 mb=5 vw0                  */
/******************************************/
label_0108: // r2 mb5 vw0 
s_mov_b32 s32, 9                                   // 
_v_cmpx_eq_u32 s[32:33], v100, s32                 // is thread in edge glvw region
v_and_b32 v96, 63, v[vgprSerial]                   // permute register between threads
v_lshlrev_b32 v96, 2, v96                          // permute register between threads
v_mov_b32 v101, v38                                // glvw 2 mb 5 tt1 0 r 0
v_mov_b32 v102, v39                                // glvw 2 mb 5 tt1 0 r 0
ds_bpermute_b32 v101, v96, v101, offset:128        // permute edge values
ds_bpermute_b32 v102, v96, v102, offset:128        // permute edge values
s_waitcnt 0                                        // wait for swizzle operation
v_mov_b32 v36, v101                                // 
v_mov_b32 v37, v102                                // 
v_mov_b32 v101, v54                                // glvw 2 mb 5 tt1 1 r 0
v_mov_b32 v102, v55                                // glvw 2 mb 5 tt1 1 r 0
ds_bpermute_b32 v101, v96, v101, offset:128        // permute edge values
ds_bpermute_b32 v102, v96, v102, offset:128        // permute edge values
s_waitcnt 0                                        // wait for swizzle operation
v_mov_b32 v52, v101                                // 
v_mov_b32 v53, v102                                // 
s_mov_b64 s[32:33], 0xFFFFFFFFFFFFFFFF             // to restore all threads active
s_or_saveexec_b64 vcc, s[32:33]                    // all threads active
s_branch label_0246                                // done shifting


/******************************************/
/* shift d1 r=2 mb=6 vw0                  */
/******************************************/
label_0110: // r2 mb6 vw0 
s_mov_b32 s32, 10                                  // 
_v_cmpx_eq_u32 s[32:33], v100, s32                 // is thread in edge glvw region
v_and_b32 v96, 63, v[vgprSerial]                   // permute register between threads
v_lshlrev_b32 v96, 2, v96                          // permute register between threads
v_mov_b32 v101, v42                                // glvw 2 mb 6 tt1 0 r 0
v_mov_b32 v102, v43                                // glvw 2 mb 6 tt1 0 r 0
ds_bpermute_b32 v101, v96, v101, offset:128        // permute edge values
ds_bpermute_b32 v102, v96, v102, offset:128        // permute edge values
s_waitcnt 0                                        // wait for swizzle operation
v_mov_b32 v40, v101                                // 
v_mov_b32 v41, v102                                // 
v_mov_b32 v101, v58                                // glvw 2 mb 6 tt1 1 r 0
v_mov_b32 v102, v59                                // glvw 2 mb 6 tt1 1 r 0
ds_bpermute_b32 v101, v96, v101, offset:128        // permute edge values
ds_bpermute_b32 v102, v96, v102, offset:128        // permute edge values
s_waitcnt 0                                        // wait for swizzle operation
v_mov_b32 v56, v101                                // 
v_mov_b32 v57, v102                                // 
s_mov_b64 s[32:33], 0xFFFFFFFFFFFFFFFF             // to restore all threads active
s_or_saveexec_b64 vcc, s[32:33]                    // all threads active
s_branch label_0246                                // done shifting


/******************************************/
/* shift d1 r=2 mb=7 vw0                  */
/******************************************/
label_0112: // r2 mb7 vw0 
s_mov_b32 s32, 11                                  // 
_v_cmpx_eq_u32 s[32:33], v100, s32                 // is thread in edge glvw region
v_and_b32 v96, 63, v[vgprSerial]                   // permute register between threads
v_lshlrev_b32 v96, 2, v96                          // permute register between threads
v_mov_b32 v101, v46                                // glvw 2 mb 7 tt1 0 r 0
v_mov_b32 v102, v47                                // glvw 2 mb 7 tt1 0 r 0
ds_bpermute_b32 v101, v96, v101, offset:128        // permute edge values
ds_bpermute_b32 v102, v96, v102, offset:128        // permute edge values
s_waitcnt 0                                        // wait for swizzle operation
v_mov_b32 v44, v101                                // 
v_mov_b32 v45, v102                                // 
v_mov_b32 v101, v62                                // glvw 2 mb 7 tt1 1 r 0
v_mov_b32 v102, v63                                // glvw 2 mb 7 tt1 1 r 0
ds_bpermute_b32 v101, v96, v101, offset:128        // permute edge values
ds_bpermute_b32 v102, v96, v102, offset:128        // permute edge values
s_waitcnt 0                                        // wait for swizzle operation
v_mov_b32 v60, v101                                // 
v_mov_b32 v61, v102                                // 
s_mov_b64 s[32:33], 0xFFFFFFFFFFFFFFFF             // to restore all threads active
s_or_saveexec_b64 vcc, s[32:33]                    // all threads active
s_branch label_0246                                // done shifting


/******************************************/
/* shift d1 r=2 mb=8 vw0                  */
/******************************************/
label_0114: // r2 mb8 vw0 
s_mov_b32 s32, 16                                  // 
_v_cmpx_eq_u32 s[32:33], v100, s32                 // is thread in edge glvw region
v_and_b32 v96, 63, v[vgprSerial]                   // permute register between threads
v_lshlrev_b32 v96, 2, v96                          // permute register between threads
v_mov_b32 v101, v66                                // glvw 2 mb 8 tt1 0 r 0
v_mov_b32 v102, v67                                // glvw 2 mb 8 tt1 0 r 0
ds_bpermute_b32 v101, v96, v101, offset:128        // permute edge values
ds_bpermute_b32 v102, v96, v102, offset:128        // permute edge values
s_waitcnt 0                                        // wait for swizzle operation
v_mov_b32 v64, v101                                // 
v_mov_b32 v65, v102                                // 
v_mov_b32 v101, v82                                // glvw 2 mb 8 tt1 1 r 0
v_mov_b32 v102, v83                                // glvw 2 mb 8 tt1 1 r 0
ds_bpermute_b32 v101, v96, v101, offset:128        // permute edge values
ds_bpermute_b32 v102, v96, v102, offset:128        // permute edge values
s_waitcnt 0                                        // wait for swizzle operation
v_mov_b32 v80, v101                                // 
v_mov_b32 v81, v102                                // 
s_mov_b64 s[32:33], 0xFFFFFFFFFFFFFFFF             // to restore all threads active
s_or_saveexec_b64 vcc, s[32:33]                    // all threads active
s_branch label_0246                                // done shifting


/******************************************/
/* shift d1 r=2 mb=9 vw0                  */
/******************************************/
label_0116: // r2 mb9 vw0 
s_mov_b32 s32, 17                                  // 
_v_cmpx_eq_u32 s[32:33], v100, s32                 // is thread in edge glvw region
v_and_b32 v96, 63, v[vgprSerial]                   // permute register between threads
v_lshlrev_b32 v96, 2, v96                          // permute register between threads
v_mov_b32 v101, v70                                // glvw 2 mb 9 tt1 0 r 0
v_mov_b32 v102, v71                                // glvw 2 mb 9 tt1 0 r 0
ds_bpermute_b32 v101, v96, v101, offset:128        // permute edge values
ds_bpermute_b32 v102, v96, v102, offset:128        // permute edge values
s_waitcnt 0                                        // wait for swizzle operation
v_mov_b32 v68, v101                                // 
v_mov_b32 v69, v102                                // 
v_mov_b32 v101, v86                                // glvw 2 mb 9 tt1 1 r 0
v_mov_b32 v102, v87                                // glvw 2 mb 9 tt1 1 r 0
ds_bpermute_b32 v101, v96, v101, offset:128        // permute edge values
ds_bpermute_b32 v102, v96, v102, offset:128        // permute edge values
s_waitcnt 0                                        // wait for swizzle operation
v_mov_b32 v84, v101                                // 
v_mov_b32 v85, v102                                // 
s_mov_b64 s[32:33], 0xFFFFFFFFFFFFFFFF             // to restore all threads active
s_or_saveexec_b64 vcc, s[32:33]                    // all threads active
s_branch label_0246                                // done shifting


/******************************************/
/* shift d1 r=2 mb=10 vw0                 */
/******************************************/
label_0118: // r2 mb10 vw0 
s_mov_b32 s32, 18                                  // 
_v_cmpx_eq_u32 s[32:33], v100, s32                 // is thread in edge glvw region
v_and_b32 v96, 63, v[vgprSerial]                   // permute register between threads
v_lshlrev_b32 v96, 2, v96                          // permute register between threads
v_mov_b32 v101, v74                                // glvw 2 mb 10 tt1 0 r 0
v_mov_b32 v102, v75                                // glvw 2 mb 10 tt1 0 r 0
ds_bpermute_b32 v101, v96, v101, offset:128        // permute edge values
ds_bpermute_b32 v102, v96, v102, offset:128        // permute edge values
s_waitcnt 0                                        // wait for swizzle operation
v_mov_b32 v72, v101                                // 
v_mov_b32 v73, v102                                // 
v_mov_b32 v101, v90                                // glvw 2 mb 10 tt1 1 r 0
v_mov_b32 v102, v91                                // glvw 2 mb 10 tt1 1 r 0
ds_bpermute_b32 v101, v96, v101, offset:128        // permute edge values
ds_bpermute_b32 v102, v96, v102, offset:128        // permute edge values
s_waitcnt 0                                        // wait for swizzle operation
v_mov_b32 v88, v101                                // 
v_mov_b32 v89, v102                                // 
s_mov_b64 s[32:33], 0xFFFFFFFFFFFFFFFF             // to restore all threads active
s_or_saveexec_b64 vcc, s[32:33]                    // all threads active
s_branch label_0246                                // done shifting


/******************************************/
/* shift d1 r=2 mb=11 vw0                 */
/******************************************/
label_0120: // r2 mb11 vw0 
s_mov_b32 s32, 19                                  // 
_v_cmpx_eq_u32 s[32:33], v100, s32                 // is thread in edge glvw region
v_and_b32 v96, 63, v[vgprSerial]                   // permute register between threads
v_lshlrev_b32 v96, 2, v96                          // permute register between threads
v_mov_b32 v101, v78                                // glvw 2 mb 11 tt1 0 r 0
v_mov_b32 v102, v79                                // glvw 2 mb 11 tt1 0 r 0
ds_bpermute_b32 v101, v96, v101, offset:128        // permute edge values
ds_bpermute_b32 v102, v96, v102, offset:128        // permute edge values
s_waitcnt 0                                        // wait for swizzle operation
v_mov_b32 v76, v101                                // 
v_mov_b32 v77, v102                                // 
v_mov_b32 v101, v94                                // glvw 2 mb 11 tt1 1 r 0
v_mov_b32 v102, v95                                // glvw 2 mb 11 tt1 1 r 0
ds_bpermute_b32 v101, v96, v101, offset:128        // permute edge values
ds_bpermute_b32 v102, v96, v102, offset:128        // permute edge values
s_waitcnt 0                                        // wait for swizzle operation
v_mov_b32 v92, v101                                // 
v_mov_b32 v93, v102                                // 
s_mov_b64 s[32:33], 0xFFFFFFFFFFFFFFFF             // to restore all threads active
s_or_saveexec_b64 vcc, s[32:33]                    // all threads active
s_branch label_0246                                // done shifting


/******************************************/
/* shift d1 r=3 mb=0 vw0                  */
/******************************************/
label_0123: // r3 mb0 vw0 
s_mov_b32 s32, 0                                   // 
_v_cmpx_eq_u32 s[32:33], v100, s32                 // is thread in edge glvw region
v_and_b32 v96, 63, v[vgprSerial]                   // permute register between threads
v_lshlrev_b32 v96, 2, v96                          // permute register between threads
v_mov_b32 v101, v1                                 // glvw 3 mb 0 tt1 0 r 0
v_mov_b32 v102, v2                                 // glvw 3 mb 0 tt1 0 r 0
	;; [unrolled: 1-line block ×3, first 2 shown]
ds_bpermute_b32 v101, v96, v101, offset:128        // permute edge values
ds_bpermute_b32 v102, v96, v102, offset:128        // permute edge values
	;; [unrolled: 1-line block ×3, first 2 shown]
s_waitcnt 0                                        // wait for swizzle operation
v_mov_b32 v0, v101                                 // 
v_mov_b32 v1, v102                                 // 
	;; [unrolled: 1-line block ×3, first 2 shown]
v_mov_b32 v101, v17                                // glvw 3 mb 0 tt1 1 r 0
v_mov_b32 v102, v18                                // glvw 3 mb 0 tt1 1 r 0
	;; [unrolled: 1-line block ×3, first 2 shown]
ds_bpermute_b32 v101, v96, v101, offset:128        // permute edge values
ds_bpermute_b32 v102, v96, v102, offset:128        // permute edge values
	;; [unrolled: 1-line block ×3, first 2 shown]
s_waitcnt 0                                        // wait for swizzle operation
v_mov_b32 v16, v101                                // 
v_mov_b32 v17, v102                                // 
	;; [unrolled: 1-line block ×3, first 2 shown]
s_mov_b64 s[32:33], 0xFFFFFFFFFFFFFFFF             // to restore all threads active
s_or_saveexec_b64 vcc, s[32:33]                    // all threads active
s_branch label_0246                                // done shifting


/******************************************/
/* shift d1 r=3 mb=1 vw0                  */
/******************************************/
label_0125: // r3 mb1 vw0 
s_mov_b32 s32, 1                                   // 
_v_cmpx_eq_u32 s[32:33], v100, s32                 // is thread in edge glvw region
v_and_b32 v96, 63, v[vgprSerial]                   // permute register between threads
v_lshlrev_b32 v96, 2, v96                          // permute register between threads
v_mov_b32 v101, v5                                 // glvw 3 mb 1 tt1 0 r 0
v_mov_b32 v102, v6                                 // glvw 3 mb 1 tt1 0 r 0
	;; [unrolled: 1-line block ×3, first 2 shown]
ds_bpermute_b32 v101, v96, v101, offset:128        // permute edge values
ds_bpermute_b32 v102, v96, v102, offset:128        // permute edge values
	;; [unrolled: 1-line block ×3, first 2 shown]
s_waitcnt 0                                        // wait for swizzle operation
v_mov_b32 v4, v101                                 // 
v_mov_b32 v5, v102                                 // 
	;; [unrolled: 1-line block ×3, first 2 shown]
v_mov_b32 v101, v21                                // glvw 3 mb 1 tt1 1 r 0
v_mov_b32 v102, v22                                // glvw 3 mb 1 tt1 1 r 0
	;; [unrolled: 1-line block ×3, first 2 shown]
ds_bpermute_b32 v101, v96, v101, offset:128        // permute edge values
ds_bpermute_b32 v102, v96, v102, offset:128        // permute edge values
	;; [unrolled: 1-line block ×3, first 2 shown]
s_waitcnt 0                                        // wait for swizzle operation
v_mov_b32 v20, v101                                // 
v_mov_b32 v21, v102                                // 
	;; [unrolled: 1-line block ×3, first 2 shown]
s_mov_b64 s[32:33], 0xFFFFFFFFFFFFFFFF             // to restore all threads active
s_or_saveexec_b64 vcc, s[32:33]                    // all threads active
s_branch label_0246                                // done shifting


/******************************************/
/* shift d1 r=3 mb=2 vw0                  */
/******************************************/
label_0127: // r3 mb2 vw0 
s_mov_b32 s32, 2                                   // 
_v_cmpx_eq_u32 s[32:33], v100, s32                 // is thread in edge glvw region
v_and_b32 v96, 63, v[vgprSerial]                   // permute register between threads
v_lshlrev_b32 v96, 2, v96                          // permute register between threads
v_mov_b32 v101, v9                                 // glvw 3 mb 2 tt1 0 r 0
v_mov_b32 v102, v10                                // glvw 3 mb 2 tt1 0 r 0
v_mov_b32 v103, v11                                // glvw 3 mb 2 tt1 0 r 0
ds_bpermute_b32 v101, v96, v101, offset:128        // permute edge values
ds_bpermute_b32 v102, v96, v102, offset:128        // permute edge values
	;; [unrolled: 1-line block ×3, first 2 shown]
s_waitcnt 0                                        // wait for swizzle operation
v_mov_b32 v8, v101                                 // 
v_mov_b32 v9, v102                                 // 
v_mov_b32 v10, v103                                // 
v_mov_b32 v101, v25                                // glvw 3 mb 2 tt1 1 r 0
v_mov_b32 v102, v26                                // glvw 3 mb 2 tt1 1 r 0
v_mov_b32 v103, v27                                // glvw 3 mb 2 tt1 1 r 0
ds_bpermute_b32 v101, v96, v101, offset:128        // permute edge values
ds_bpermute_b32 v102, v96, v102, offset:128        // permute edge values
	;; [unrolled: 1-line block ×3, first 2 shown]
s_waitcnt 0                                        // wait for swizzle operation
v_mov_b32 v24, v101                                // 
v_mov_b32 v25, v102                                // 
	;; [unrolled: 1-line block ×3, first 2 shown]
s_mov_b64 s[32:33], 0xFFFFFFFFFFFFFFFF             // to restore all threads active
s_or_saveexec_b64 vcc, s[32:33]                    // all threads active
s_branch label_0246                                // done shifting


/******************************************/
/* shift d1 r=3 mb=3 vw0                  */
/******************************************/
label_0129: // r3 mb3 vw0 
s_mov_b32 s32, 3                                   // 
_v_cmpx_eq_u32 s[32:33], v100, s32                 // is thread in edge glvw region
v_and_b32 v96, 63, v[vgprSerial]                   // permute register between threads
v_lshlrev_b32 v96, 2, v96                          // permute register between threads
v_mov_b32 v101, v13                                // glvw 3 mb 3 tt1 0 r 0
v_mov_b32 v102, v14                                // glvw 3 mb 3 tt1 0 r 0
	;; [unrolled: 1-line block ×3, first 2 shown]
ds_bpermute_b32 v101, v96, v101, offset:128        // permute edge values
ds_bpermute_b32 v102, v96, v102, offset:128        // permute edge values
	;; [unrolled: 1-line block ×3, first 2 shown]
s_waitcnt 0                                        // wait for swizzle operation
v_mov_b32 v12, v101                                // 
v_mov_b32 v13, v102                                // 
	;; [unrolled: 1-line block ×3, first 2 shown]
v_mov_b32 v101, v29                                // glvw 3 mb 3 tt1 1 r 0
v_mov_b32 v102, v30                                // glvw 3 mb 3 tt1 1 r 0
	;; [unrolled: 1-line block ×3, first 2 shown]
ds_bpermute_b32 v101, v96, v101, offset:128        // permute edge values
ds_bpermute_b32 v102, v96, v102, offset:128        // permute edge values
	;; [unrolled: 1-line block ×3, first 2 shown]
s_waitcnt 0                                        // wait for swizzle operation
v_mov_b32 v28, v101                                // 
v_mov_b32 v29, v102                                // 
	;; [unrolled: 1-line block ×3, first 2 shown]
s_mov_b64 s[32:33], 0xFFFFFFFFFFFFFFFF             // to restore all threads active
s_or_saveexec_b64 vcc, s[32:33]                    // all threads active
s_branch label_0246                                // done shifting


/******************************************/
/* shift d1 r=3 mb=4 vw0                  */
/******************************************/
label_0131: // r3 mb4 vw0 
s_mov_b32 s32, 8                                   // 
_v_cmpx_eq_u32 s[32:33], v100, s32                 // is thread in edge glvw region
v_and_b32 v96, 63, v[vgprSerial]                   // permute register between threads
v_lshlrev_b32 v96, 2, v96                          // permute register between threads
v_mov_b32 v101, v33                                // glvw 3 mb 4 tt1 0 r 0
v_mov_b32 v102, v34                                // glvw 3 mb 4 tt1 0 r 0
	;; [unrolled: 1-line block ×3, first 2 shown]
ds_bpermute_b32 v101, v96, v101, offset:128        // permute edge values
ds_bpermute_b32 v102, v96, v102, offset:128        // permute edge values
	;; [unrolled: 1-line block ×3, first 2 shown]
s_waitcnt 0                                        // wait for swizzle operation
v_mov_b32 v32, v101                                // 
v_mov_b32 v33, v102                                // 
	;; [unrolled: 1-line block ×3, first 2 shown]
v_mov_b32 v101, v49                                // glvw 3 mb 4 tt1 1 r 0
v_mov_b32 v102, v50                                // glvw 3 mb 4 tt1 1 r 0
	;; [unrolled: 1-line block ×3, first 2 shown]
ds_bpermute_b32 v101, v96, v101, offset:128        // permute edge values
ds_bpermute_b32 v102, v96, v102, offset:128        // permute edge values
	;; [unrolled: 1-line block ×3, first 2 shown]
s_waitcnt 0                                        // wait for swizzle operation
v_mov_b32 v48, v101                                // 
v_mov_b32 v49, v102                                // 
	;; [unrolled: 1-line block ×3, first 2 shown]
s_mov_b64 s[32:33], 0xFFFFFFFFFFFFFFFF             // to restore all threads active
s_or_saveexec_b64 vcc, s[32:33]                    // all threads active
s_branch label_0246                                // done shifting


/******************************************/
/* shift d1 r=3 mb=5 vw0                  */
/******************************************/
label_0133: // r3 mb5 vw0 
s_mov_b32 s32, 9                                   // 
_v_cmpx_eq_u32 s[32:33], v100, s32                 // is thread in edge glvw region
v_and_b32 v96, 63, v[vgprSerial]                   // permute register between threads
v_lshlrev_b32 v96, 2, v96                          // permute register between threads
v_mov_b32 v101, v37                                // glvw 3 mb 5 tt1 0 r 0
v_mov_b32 v102, v38                                // glvw 3 mb 5 tt1 0 r 0
	;; [unrolled: 1-line block ×3, first 2 shown]
ds_bpermute_b32 v101, v96, v101, offset:128        // permute edge values
ds_bpermute_b32 v102, v96, v102, offset:128        // permute edge values
	;; [unrolled: 1-line block ×3, first 2 shown]
s_waitcnt 0                                        // wait for swizzle operation
v_mov_b32 v36, v101                                // 
v_mov_b32 v37, v102                                // 
	;; [unrolled: 1-line block ×3, first 2 shown]
v_mov_b32 v101, v53                                // glvw 3 mb 5 tt1 1 r 0
v_mov_b32 v102, v54                                // glvw 3 mb 5 tt1 1 r 0
	;; [unrolled: 1-line block ×3, first 2 shown]
ds_bpermute_b32 v101, v96, v101, offset:128        // permute edge values
ds_bpermute_b32 v102, v96, v102, offset:128        // permute edge values
	;; [unrolled: 1-line block ×3, first 2 shown]
s_waitcnt 0                                        // wait for swizzle operation
v_mov_b32 v52, v101                                // 
v_mov_b32 v53, v102                                // 
	;; [unrolled: 1-line block ×3, first 2 shown]
s_mov_b64 s[32:33], 0xFFFFFFFFFFFFFFFF             // to restore all threads active
s_or_saveexec_b64 vcc, s[32:33]                    // all threads active
s_branch label_0246                                // done shifting


/******************************************/
/* shift d1 r=3 mb=6 vw0                  */
/******************************************/
label_0135: // r3 mb6 vw0 
s_mov_b32 s32, 10                                  // 
_v_cmpx_eq_u32 s[32:33], v100, s32                 // is thread in edge glvw region
v_and_b32 v96, 63, v[vgprSerial]                   // permute register between threads
v_lshlrev_b32 v96, 2, v96                          // permute register between threads
v_mov_b32 v101, v41                                // glvw 3 mb 6 tt1 0 r 0
v_mov_b32 v102, v42                                // glvw 3 mb 6 tt1 0 r 0
	;; [unrolled: 1-line block ×3, first 2 shown]
ds_bpermute_b32 v101, v96, v101, offset:128        // permute edge values
ds_bpermute_b32 v102, v96, v102, offset:128        // permute edge values
	;; [unrolled: 1-line block ×3, first 2 shown]
s_waitcnt 0                                        // wait for swizzle operation
v_mov_b32 v40, v101                                // 
v_mov_b32 v41, v102                                // 
	;; [unrolled: 1-line block ×3, first 2 shown]
v_mov_b32 v101, v57                                // glvw 3 mb 6 tt1 1 r 0
v_mov_b32 v102, v58                                // glvw 3 mb 6 tt1 1 r 0
v_mov_b32 v103, v59                                // glvw 3 mb 6 tt1 1 r 0
ds_bpermute_b32 v101, v96, v101, offset:128        // permute edge values
ds_bpermute_b32 v102, v96, v102, offset:128        // permute edge values
	;; [unrolled: 1-line block ×3, first 2 shown]
s_waitcnt 0                                        // wait for swizzle operation
v_mov_b32 v56, v101                                // 
v_mov_b32 v57, v102                                // 
	;; [unrolled: 1-line block ×3, first 2 shown]
s_mov_b64 s[32:33], 0xFFFFFFFFFFFFFFFF             // to restore all threads active
s_or_saveexec_b64 vcc, s[32:33]                    // all threads active
s_branch label_0246                                // done shifting


/******************************************/
/* shift d1 r=3 mb=7 vw0                  */
/******************************************/
label_0137: // r3 mb7 vw0 
s_mov_b32 s32, 11                                  // 
_v_cmpx_eq_u32 s[32:33], v100, s32                 // is thread in edge glvw region
v_and_b32 v96, 63, v[vgprSerial]                   // permute register between threads
v_lshlrev_b32 v96, 2, v96                          // permute register between threads
v_mov_b32 v101, v45                                // glvw 3 mb 7 tt1 0 r 0
v_mov_b32 v102, v46                                // glvw 3 mb 7 tt1 0 r 0
v_mov_b32 v103, v47                                // glvw 3 mb 7 tt1 0 r 0
ds_bpermute_b32 v101, v96, v101, offset:128        // permute edge values
ds_bpermute_b32 v102, v96, v102, offset:128        // permute edge values
	;; [unrolled: 1-line block ×3, first 2 shown]
s_waitcnt 0                                        // wait for swizzle operation
v_mov_b32 v44, v101                                // 
v_mov_b32 v45, v102                                // 
	;; [unrolled: 1-line block ×3, first 2 shown]
v_mov_b32 v101, v61                                // glvw 3 mb 7 tt1 1 r 0
v_mov_b32 v102, v62                                // glvw 3 mb 7 tt1 1 r 0
	;; [unrolled: 1-line block ×3, first 2 shown]
ds_bpermute_b32 v101, v96, v101, offset:128        // permute edge values
ds_bpermute_b32 v102, v96, v102, offset:128        // permute edge values
	;; [unrolled: 1-line block ×3, first 2 shown]
s_waitcnt 0                                        // wait for swizzle operation
v_mov_b32 v60, v101                                // 
v_mov_b32 v61, v102                                // 
	;; [unrolled: 1-line block ×3, first 2 shown]
s_mov_b64 s[32:33], 0xFFFFFFFFFFFFFFFF             // to restore all threads active
s_or_saveexec_b64 vcc, s[32:33]                    // all threads active
s_branch label_0246                                // done shifting


/******************************************/
/* shift d1 r=3 mb=8 vw0                  */
/******************************************/
label_0139: // r3 mb8 vw0 
s_mov_b32 s32, 16                                  // 
_v_cmpx_eq_u32 s[32:33], v100, s32                 // is thread in edge glvw region
v_and_b32 v96, 63, v[vgprSerial]                   // permute register between threads
v_lshlrev_b32 v96, 2, v96                          // permute register between threads
v_mov_b32 v101, v65                                // glvw 3 mb 8 tt1 0 r 0
v_mov_b32 v102, v66                                // glvw 3 mb 8 tt1 0 r 0
	;; [unrolled: 1-line block ×3, first 2 shown]
ds_bpermute_b32 v101, v96, v101, offset:128        // permute edge values
ds_bpermute_b32 v102, v96, v102, offset:128        // permute edge values
	;; [unrolled: 1-line block ×3, first 2 shown]
s_waitcnt 0                                        // wait for swizzle operation
v_mov_b32 v64, v101                                // 
v_mov_b32 v65, v102                                // 
v_mov_b32 v66, v103                                // 
v_mov_b32 v101, v81                                // glvw 3 mb 8 tt1 1 r 0
v_mov_b32 v102, v82                                // glvw 3 mb 8 tt1 1 r 0
v_mov_b32 v103, v83                                // glvw 3 mb 8 tt1 1 r 0
ds_bpermute_b32 v101, v96, v101, offset:128        // permute edge values
ds_bpermute_b32 v102, v96, v102, offset:128        // permute edge values
ds_bpermute_b32 v103, v96, v103, offset:128        // permute edge values
s_waitcnt 0                                        // wait for swizzle operation
v_mov_b32 v80, v101                                // 
v_mov_b32 v81, v102                                // 
	;; [unrolled: 1-line block ×3, first 2 shown]
s_mov_b64 s[32:33], 0xFFFFFFFFFFFFFFFF             // to restore all threads active
s_or_saveexec_b64 vcc, s[32:33]                    // all threads active
s_branch label_0246                                // done shifting


/******************************************/
/* shift d1 r=3 mb=9 vw0                  */
/******************************************/
label_0141: // r3 mb9 vw0 
s_mov_b32 s32, 17                                  // 
_v_cmpx_eq_u32 s[32:33], v100, s32                 // is thread in edge glvw region
v_and_b32 v96, 63, v[vgprSerial]                   // permute register between threads
v_lshlrev_b32 v96, 2, v96                          // permute register between threads
v_mov_b32 v101, v69                                // glvw 3 mb 9 tt1 0 r 0
v_mov_b32 v102, v70                                // glvw 3 mb 9 tt1 0 r 0
	;; [unrolled: 1-line block ×3, first 2 shown]
ds_bpermute_b32 v101, v96, v101, offset:128        // permute edge values
ds_bpermute_b32 v102, v96, v102, offset:128        // permute edge values
	;; [unrolled: 1-line block ×3, first 2 shown]
s_waitcnt 0                                        // wait for swizzle operation
v_mov_b32 v68, v101                                // 
v_mov_b32 v69, v102                                // 
	;; [unrolled: 1-line block ×3, first 2 shown]
v_mov_b32 v101, v85                                // glvw 3 mb 9 tt1 1 r 0
v_mov_b32 v102, v86                                // glvw 3 mb 9 tt1 1 r 0
	;; [unrolled: 1-line block ×3, first 2 shown]
ds_bpermute_b32 v101, v96, v101, offset:128        // permute edge values
ds_bpermute_b32 v102, v96, v102, offset:128        // permute edge values
	;; [unrolled: 1-line block ×3, first 2 shown]
s_waitcnt 0                                        // wait for swizzle operation
v_mov_b32 v84, v101                                // 
v_mov_b32 v85, v102                                // 
	;; [unrolled: 1-line block ×3, first 2 shown]
s_mov_b64 s[32:33], 0xFFFFFFFFFFFFFFFF             // to restore all threads active
s_or_saveexec_b64 vcc, s[32:33]                    // all threads active
s_branch label_0246                                // done shifting


/******************************************/
/* shift d1 r=3 mb=10 vw0                 */
/******************************************/
label_0143: // r3 mb10 vw0 
s_mov_b32 s32, 18                                  // 
_v_cmpx_eq_u32 s[32:33], v100, s32                 // is thread in edge glvw region
v_and_b32 v96, 63, v[vgprSerial]                   // permute register between threads
v_lshlrev_b32 v96, 2, v96                          // permute register between threads
v_mov_b32 v101, v73                                // glvw 3 mb 10 tt1 0 r 0
v_mov_b32 v102, v74                                // glvw 3 mb 10 tt1 0 r 0
	;; [unrolled: 1-line block ×3, first 2 shown]
ds_bpermute_b32 v101, v96, v101, offset:128        // permute edge values
ds_bpermute_b32 v102, v96, v102, offset:128        // permute edge values
	;; [unrolled: 1-line block ×3, first 2 shown]
s_waitcnt 0                                        // wait for swizzle operation
v_mov_b32 v72, v101                                // 
v_mov_b32 v73, v102                                // 
	;; [unrolled: 1-line block ×3, first 2 shown]
v_mov_b32 v101, v89                                // glvw 3 mb 10 tt1 1 r 0
v_mov_b32 v102, v90                                // glvw 3 mb 10 tt1 1 r 0
v_mov_b32 v103, v91                                // glvw 3 mb 10 tt1 1 r 0
ds_bpermute_b32 v101, v96, v101, offset:128        // permute edge values
ds_bpermute_b32 v102, v96, v102, offset:128        // permute edge values
	;; [unrolled: 1-line block ×3, first 2 shown]
s_waitcnt 0                                        // wait for swizzle operation
v_mov_b32 v88, v101                                // 
v_mov_b32 v89, v102                                // 
	;; [unrolled: 1-line block ×3, first 2 shown]
s_mov_b64 s[32:33], 0xFFFFFFFFFFFFFFFF             // to restore all threads active
s_or_saveexec_b64 vcc, s[32:33]                    // all threads active
s_branch label_0246                                // done shifting


/******************************************/
/* shift d1 r=3 mb=11 vw0                 */
/******************************************/
label_0145: // r3 mb11 vw0 
s_mov_b32 s32, 19                                  // 
_v_cmpx_eq_u32 s[32:33], v100, s32                 // is thread in edge glvw region
v_and_b32 v96, 63, v[vgprSerial]                   // permute register between threads
v_lshlrev_b32 v96, 2, v96                          // permute register between threads
v_mov_b32 v101, v77                                // glvw 3 mb 11 tt1 0 r 0
v_mov_b32 v102, v78                                // glvw 3 mb 11 tt1 0 r 0
	;; [unrolled: 1-line block ×3, first 2 shown]
ds_bpermute_b32 v101, v96, v101, offset:128        // permute edge values
ds_bpermute_b32 v102, v96, v102, offset:128        // permute edge values
ds_bpermute_b32 v103, v96, v103, offset:128        // permute edge values
s_waitcnt 0                                        // wait for swizzle operation
v_mov_b32 v76, v101                                // 
v_mov_b32 v77, v102                                // 
	;; [unrolled: 1-line block ×3, first 2 shown]
v_mov_b32 v101, v93                                // glvw 3 mb 11 tt1 1 r 0
v_mov_b32 v102, v94                                // glvw 3 mb 11 tt1 1 r 0
	;; [unrolled: 1-line block ×3, first 2 shown]
ds_bpermute_b32 v101, v96, v101, offset:128        // permute edge values
ds_bpermute_b32 v102, v96, v102, offset:128        // permute edge values
	;; [unrolled: 1-line block ×3, first 2 shown]
s_waitcnt 0                                        // wait for swizzle operation
v_mov_b32 v92, v101                                // 
v_mov_b32 v93, v102                                // 
v_mov_b32 v94, v103                                // 
s_mov_b64 s[32:33], 0xFFFFFFFFFFFFFFFF             // to restore all threads active
s_or_saveexec_b64 vcc, s[32:33]                    // all threads active
s_branch label_0246                                // done shifting


/******************************************/
/* shift d1 r=4 mb=0 vw0                  */
/******************************************/
label_0148: // r4 mb0 vw0 
s_mov_b32 s32, 0                                   // 
_v_cmpx_eq_u32 s[32:33], v100, s32                 // is thread in edge glvw region
v_and_b32 v96, 63, v[vgprSerial]                   // permute register between threads
v_lshlrev_b32 v96, 2, v96                          // permute register between threads
v_mov_b32 v101, v0                                 // glvw 4 mb 0 tt1 0 r 0
v_mov_b32 v102, v1                                 // glvw 4 mb 0 tt1 0 r 0
	;; [unrolled: 1-line block ×4, first 2 shown]
ds_bpermute_b32 v101, v96, v101, offset:128        // permute edge values
ds_bpermute_b32 v102, v96, v102, offset:128        // permute edge values
	;; [unrolled: 1-line block ×4, first 2 shown]
s_waitcnt 0                                        // wait for swizzle operation
v_mov_b32 v0, v101                                 // 
v_mov_b32 v1, v102                                 // 
	;; [unrolled: 1-line block ×4, first 2 shown]
v_mov_b32 v101, v16                                // glvw 4 mb 0 tt1 1 r 0
v_mov_b32 v102, v17                                // glvw 4 mb 0 tt1 1 r 0
	;; [unrolled: 1-line block ×4, first 2 shown]
ds_bpermute_b32 v101, v96, v101, offset:128        // permute edge values
ds_bpermute_b32 v102, v96, v102, offset:128        // permute edge values
	;; [unrolled: 1-line block ×4, first 2 shown]
s_waitcnt 0                                        // wait for swizzle operation
v_mov_b32 v16, v101                                // 
v_mov_b32 v17, v102                                // 
	;; [unrolled: 1-line block ×4, first 2 shown]
s_mov_b64 s[32:33], 0xFFFFFFFFFFFFFFFF             // to restore all threads active
s_or_saveexec_b64 vcc, s[32:33]                    // all threads active
s_branch label_0246                                // done shifting


/******************************************/
/* shift d1 r=4 mb=1 vw0                  */
/******************************************/
label_0150: // r4 mb1 vw0 
s_mov_b32 s32, 1                                   // 
_v_cmpx_eq_u32 s[32:33], v100, s32                 // is thread in edge glvw region
v_and_b32 v96, 63, v[vgprSerial]                   // permute register between threads
v_lshlrev_b32 v96, 2, v96                          // permute register between threads
v_mov_b32 v101, v4                                 // glvw 4 mb 1 tt1 0 r 0
v_mov_b32 v102, v5                                 // glvw 4 mb 1 tt1 0 r 0
	;; [unrolled: 1-line block ×4, first 2 shown]
ds_bpermute_b32 v101, v96, v101, offset:128        // permute edge values
ds_bpermute_b32 v102, v96, v102, offset:128        // permute edge values
	;; [unrolled: 1-line block ×4, first 2 shown]
s_waitcnt 0                                        // wait for swizzle operation
v_mov_b32 v4, v101                                 // 
v_mov_b32 v5, v102                                 // 
	;; [unrolled: 1-line block ×4, first 2 shown]
v_mov_b32 v101, v20                                // glvw 4 mb 1 tt1 1 r 0
v_mov_b32 v102, v21                                // glvw 4 mb 1 tt1 1 r 0
	;; [unrolled: 1-line block ×4, first 2 shown]
ds_bpermute_b32 v101, v96, v101, offset:128        // permute edge values
ds_bpermute_b32 v102, v96, v102, offset:128        // permute edge values
	;; [unrolled: 1-line block ×4, first 2 shown]
s_waitcnt 0                                        // wait for swizzle operation
v_mov_b32 v20, v101                                // 
v_mov_b32 v21, v102                                // 
	;; [unrolled: 1-line block ×4, first 2 shown]
s_mov_b64 s[32:33], 0xFFFFFFFFFFFFFFFF             // to restore all threads active
s_or_saveexec_b64 vcc, s[32:33]                    // all threads active
s_branch label_0246                                // done shifting


/******************************************/
/* shift d1 r=4 mb=2 vw0                  */
/******************************************/
label_0152: // r4 mb2 vw0 
s_mov_b32 s32, 2                                   // 
_v_cmpx_eq_u32 s[32:33], v100, s32                 // is thread in edge glvw region
v_and_b32 v96, 63, v[vgprSerial]                   // permute register between threads
v_lshlrev_b32 v96, 2, v96                          // permute register between threads
v_mov_b32 v101, v8                                 // glvw 4 mb 2 tt1 0 r 0
v_mov_b32 v102, v9                                 // glvw 4 mb 2 tt1 0 r 0
v_mov_b32 v103, v10                                // glvw 4 mb 2 tt1 0 r 0
v_mov_b32 v104, v11                                // glvw 4 mb 2 tt1 0 r 0
ds_bpermute_b32 v101, v96, v101, offset:128        // permute edge values
ds_bpermute_b32 v102, v96, v102, offset:128        // permute edge values
	;; [unrolled: 1-line block ×4, first 2 shown]
s_waitcnt 0                                        // wait for swizzle operation
v_mov_b32 v8, v101                                 // 
v_mov_b32 v9, v102                                 // 
v_mov_b32 v10, v103                                // 
v_mov_b32 v11, v104                                // 
v_mov_b32 v101, v24                                // glvw 4 mb 2 tt1 1 r 0
v_mov_b32 v102, v25                                // glvw 4 mb 2 tt1 1 r 0
	;; [unrolled: 1-line block ×4, first 2 shown]
ds_bpermute_b32 v101, v96, v101, offset:128        // permute edge values
ds_bpermute_b32 v102, v96, v102, offset:128        // permute edge values
	;; [unrolled: 1-line block ×4, first 2 shown]
s_waitcnt 0                                        // wait for swizzle operation
v_mov_b32 v24, v101                                // 
v_mov_b32 v25, v102                                // 
	;; [unrolled: 1-line block ×4, first 2 shown]
s_mov_b64 s[32:33], 0xFFFFFFFFFFFFFFFF             // to restore all threads active
s_or_saveexec_b64 vcc, s[32:33]                    // all threads active
s_branch label_0246                                // done shifting


/******************************************/
/* shift d1 r=4 mb=3 vw0                  */
/******************************************/
label_0154: // r4 mb3 vw0 
s_mov_b32 s32, 3                                   // 
_v_cmpx_eq_u32 s[32:33], v100, s32                 // is thread in edge glvw region
v_and_b32 v96, 63, v[vgprSerial]                   // permute register between threads
v_lshlrev_b32 v96, 2, v96                          // permute register between threads
v_mov_b32 v101, v12                                // glvw 4 mb 3 tt1 0 r 0
v_mov_b32 v102, v13                                // glvw 4 mb 3 tt1 0 r 0
	;; [unrolled: 1-line block ×4, first 2 shown]
ds_bpermute_b32 v101, v96, v101, offset:128        // permute edge values
ds_bpermute_b32 v102, v96, v102, offset:128        // permute edge values
ds_bpermute_b32 v103, v96, v103, offset:128        // permute edge values
ds_bpermute_b32 v104, v96, v104, offset:128        // permute edge values
s_waitcnt 0                                        // wait for swizzle operation
v_mov_b32 v12, v101                                // 
v_mov_b32 v13, v102                                // 
	;; [unrolled: 1-line block ×4, first 2 shown]
v_mov_b32 v101, v28                                // glvw 4 mb 3 tt1 1 r 0
v_mov_b32 v102, v29                                // glvw 4 mb 3 tt1 1 r 0
v_mov_b32 v103, v30                                // glvw 4 mb 3 tt1 1 r 0
v_mov_b32 v104, v31                                // glvw 4 mb 3 tt1 1 r 0
ds_bpermute_b32 v101, v96, v101, offset:128        // permute edge values
ds_bpermute_b32 v102, v96, v102, offset:128        // permute edge values
	;; [unrolled: 1-line block ×4, first 2 shown]
s_waitcnt 0                                        // wait for swizzle operation
v_mov_b32 v28, v101                                // 
v_mov_b32 v29, v102                                // 
	;; [unrolled: 1-line block ×4, first 2 shown]
s_mov_b64 s[32:33], 0xFFFFFFFFFFFFFFFF             // to restore all threads active
s_or_saveexec_b64 vcc, s[32:33]                    // all threads active
s_branch label_0246                                // done shifting


/******************************************/
/* shift d1 r=4 mb=4 vw0                  */
/******************************************/
label_0156: // r4 mb4 vw0 
s_mov_b32 s32, 8                                   // 
_v_cmpx_eq_u32 s[32:33], v100, s32                 // is thread in edge glvw region
v_and_b32 v96, 63, v[vgprSerial]                   // permute register between threads
v_lshlrev_b32 v96, 2, v96                          // permute register between threads
v_mov_b32 v101, v32                                // glvw 4 mb 4 tt1 0 r 0
v_mov_b32 v102, v33                                // glvw 4 mb 4 tt1 0 r 0
	;; [unrolled: 1-line block ×4, first 2 shown]
ds_bpermute_b32 v101, v96, v101, offset:128        // permute edge values
ds_bpermute_b32 v102, v96, v102, offset:128        // permute edge values
	;; [unrolled: 1-line block ×4, first 2 shown]
s_waitcnt 0                                        // wait for swizzle operation
v_mov_b32 v32, v101                                // 
v_mov_b32 v33, v102                                // 
	;; [unrolled: 1-line block ×4, first 2 shown]
v_mov_b32 v101, v48                                // glvw 4 mb 4 tt1 1 r 0
v_mov_b32 v102, v49                                // glvw 4 mb 4 tt1 1 r 0
	;; [unrolled: 1-line block ×4, first 2 shown]
ds_bpermute_b32 v101, v96, v101, offset:128        // permute edge values
ds_bpermute_b32 v102, v96, v102, offset:128        // permute edge values
	;; [unrolled: 1-line block ×4, first 2 shown]
s_waitcnt 0                                        // wait for swizzle operation
v_mov_b32 v48, v101                                // 
v_mov_b32 v49, v102                                // 
	;; [unrolled: 1-line block ×4, first 2 shown]
s_mov_b64 s[32:33], 0xFFFFFFFFFFFFFFFF             // to restore all threads active
s_or_saveexec_b64 vcc, s[32:33]                    // all threads active
s_branch label_0246                                // done shifting


/******************************************/
/* shift d1 r=4 mb=5 vw0                  */
/******************************************/
label_0158: // r4 mb5 vw0 
s_mov_b32 s32, 9                                   // 
_v_cmpx_eq_u32 s[32:33], v100, s32                 // is thread in edge glvw region
v_and_b32 v96, 63, v[vgprSerial]                   // permute register between threads
v_lshlrev_b32 v96, 2, v96                          // permute register between threads
v_mov_b32 v101, v36                                // glvw 4 mb 5 tt1 0 r 0
v_mov_b32 v102, v37                                // glvw 4 mb 5 tt1 0 r 0
	;; [unrolled: 1-line block ×4, first 2 shown]
ds_bpermute_b32 v101, v96, v101, offset:128        // permute edge values
ds_bpermute_b32 v102, v96, v102, offset:128        // permute edge values
	;; [unrolled: 1-line block ×4, first 2 shown]
s_waitcnt 0                                        // wait for swizzle operation
v_mov_b32 v36, v101                                // 
v_mov_b32 v37, v102                                // 
	;; [unrolled: 1-line block ×4, first 2 shown]
v_mov_b32 v101, v52                                // glvw 4 mb 5 tt1 1 r 0
v_mov_b32 v102, v53                                // glvw 4 mb 5 tt1 1 r 0
	;; [unrolled: 1-line block ×4, first 2 shown]
ds_bpermute_b32 v101, v96, v101, offset:128        // permute edge values
ds_bpermute_b32 v102, v96, v102, offset:128        // permute edge values
	;; [unrolled: 1-line block ×4, first 2 shown]
s_waitcnt 0                                        // wait for swizzle operation
v_mov_b32 v52, v101                                // 
v_mov_b32 v53, v102                                // 
	;; [unrolled: 1-line block ×4, first 2 shown]
s_mov_b64 s[32:33], 0xFFFFFFFFFFFFFFFF             // to restore all threads active
s_or_saveexec_b64 vcc, s[32:33]                    // all threads active
s_branch label_0246                                // done shifting


/******************************************/
/* shift d1 r=4 mb=6 vw0                  */
/******************************************/
label_0160: // r4 mb6 vw0 
s_mov_b32 s32, 10                                  // 
_v_cmpx_eq_u32 s[32:33], v100, s32                 // is thread in edge glvw region
v_and_b32 v96, 63, v[vgprSerial]                   // permute register between threads
v_lshlrev_b32 v96, 2, v96                          // permute register between threads
v_mov_b32 v101, v40                                // glvw 4 mb 6 tt1 0 r 0
v_mov_b32 v102, v41                                // glvw 4 mb 6 tt1 0 r 0
	;; [unrolled: 1-line block ×4, first 2 shown]
ds_bpermute_b32 v101, v96, v101, offset:128        // permute edge values
ds_bpermute_b32 v102, v96, v102, offset:128        // permute edge values
	;; [unrolled: 1-line block ×4, first 2 shown]
s_waitcnt 0                                        // wait for swizzle operation
v_mov_b32 v40, v101                                // 
v_mov_b32 v41, v102                                // 
	;; [unrolled: 1-line block ×4, first 2 shown]
v_mov_b32 v101, v56                                // glvw 4 mb 6 tt1 1 r 0
v_mov_b32 v102, v57                                // glvw 4 mb 6 tt1 1 r 0
	;; [unrolled: 1-line block ×4, first 2 shown]
ds_bpermute_b32 v101, v96, v101, offset:128        // permute edge values
ds_bpermute_b32 v102, v96, v102, offset:128        // permute edge values
	;; [unrolled: 1-line block ×4, first 2 shown]
s_waitcnt 0                                        // wait for swizzle operation
v_mov_b32 v56, v101                                // 
v_mov_b32 v57, v102                                // 
v_mov_b32 v58, v103                                // 
v_mov_b32 v59, v104                                // 
s_mov_b64 s[32:33], 0xFFFFFFFFFFFFFFFF             // to restore all threads active
s_or_saveexec_b64 vcc, s[32:33]                    // all threads active
s_branch label_0246                                // done shifting


/******************************************/
/* shift d1 r=4 mb=7 vw0                  */
/******************************************/
label_0162: // r4 mb7 vw0 
s_mov_b32 s32, 11                                  // 
_v_cmpx_eq_u32 s[32:33], v100, s32                 // is thread in edge glvw region
v_and_b32 v96, 63, v[vgprSerial]                   // permute register between threads
v_lshlrev_b32 v96, 2, v96                          // permute register between threads
v_mov_b32 v101, v44                                // glvw 4 mb 7 tt1 0 r 0
v_mov_b32 v102, v45                                // glvw 4 mb 7 tt1 0 r 0
	;; [unrolled: 1-line block ×4, first 2 shown]
ds_bpermute_b32 v101, v96, v101, offset:128        // permute edge values
ds_bpermute_b32 v102, v96, v102, offset:128        // permute edge values
	;; [unrolled: 1-line block ×4, first 2 shown]
s_waitcnt 0                                        // wait for swizzle operation
v_mov_b32 v44, v101                                // 
v_mov_b32 v45, v102                                // 
	;; [unrolled: 1-line block ×4, first 2 shown]
v_mov_b32 v101, v60                                // glvw 4 mb 7 tt1 1 r 0
v_mov_b32 v102, v61                                // glvw 4 mb 7 tt1 1 r 0
	;; [unrolled: 1-line block ×4, first 2 shown]
ds_bpermute_b32 v101, v96, v101, offset:128        // permute edge values
ds_bpermute_b32 v102, v96, v102, offset:128        // permute edge values
	;; [unrolled: 1-line block ×4, first 2 shown]
s_waitcnt 0                                        // wait for swizzle operation
v_mov_b32 v60, v101                                // 
v_mov_b32 v61, v102                                // 
	;; [unrolled: 1-line block ×4, first 2 shown]
s_mov_b64 s[32:33], 0xFFFFFFFFFFFFFFFF             // to restore all threads active
s_or_saveexec_b64 vcc, s[32:33]                    // all threads active
s_branch label_0246                                // done shifting


/******************************************/
/* shift d1 r=4 mb=8 vw0                  */
/******************************************/
label_0164: // r4 mb8 vw0 
s_mov_b32 s32, 16                                  // 
_v_cmpx_eq_u32 s[32:33], v100, s32                 // is thread in edge glvw region
v_and_b32 v96, 63, v[vgprSerial]                   // permute register between threads
v_lshlrev_b32 v96, 2, v96                          // permute register between threads
v_mov_b32 v101, v64                                // glvw 4 mb 8 tt1 0 r 0
v_mov_b32 v102, v65                                // glvw 4 mb 8 tt1 0 r 0
	;; [unrolled: 1-line block ×4, first 2 shown]
ds_bpermute_b32 v101, v96, v101, offset:128        // permute edge values
ds_bpermute_b32 v102, v96, v102, offset:128        // permute edge values
	;; [unrolled: 1-line block ×4, first 2 shown]
s_waitcnt 0                                        // wait for swizzle operation
v_mov_b32 v64, v101                                // 
v_mov_b32 v65, v102                                // 
	;; [unrolled: 1-line block ×4, first 2 shown]
v_mov_b32 v101, v80                                // glvw 4 mb 8 tt1 1 r 0
v_mov_b32 v102, v81                                // glvw 4 mb 8 tt1 1 r 0
	;; [unrolled: 1-line block ×4, first 2 shown]
ds_bpermute_b32 v101, v96, v101, offset:128        // permute edge values
ds_bpermute_b32 v102, v96, v102, offset:128        // permute edge values
	;; [unrolled: 1-line block ×4, first 2 shown]
s_waitcnt 0                                        // wait for swizzle operation
v_mov_b32 v80, v101                                // 
v_mov_b32 v81, v102                                // 
	;; [unrolled: 1-line block ×4, first 2 shown]
s_mov_b64 s[32:33], 0xFFFFFFFFFFFFFFFF             // to restore all threads active
s_or_saveexec_b64 vcc, s[32:33]                    // all threads active
s_branch label_0246                                // done shifting


/******************************************/
/* shift d1 r=4 mb=9 vw0                  */
/******************************************/
label_0166: // r4 mb9 vw0 
s_mov_b32 s32, 17                                  // 
_v_cmpx_eq_u32 s[32:33], v100, s32                 // is thread in edge glvw region
v_and_b32 v96, 63, v[vgprSerial]                   // permute register between threads
v_lshlrev_b32 v96, 2, v96                          // permute register between threads
v_mov_b32 v101, v68                                // glvw 4 mb 9 tt1 0 r 0
v_mov_b32 v102, v69                                // glvw 4 mb 9 tt1 0 r 0
	;; [unrolled: 1-line block ×4, first 2 shown]
ds_bpermute_b32 v101, v96, v101, offset:128        // permute edge values
ds_bpermute_b32 v102, v96, v102, offset:128        // permute edge values
	;; [unrolled: 1-line block ×4, first 2 shown]
s_waitcnt 0                                        // wait for swizzle operation
v_mov_b32 v68, v101                                // 
v_mov_b32 v69, v102                                // 
	;; [unrolled: 1-line block ×4, first 2 shown]
v_mov_b32 v101, v84                                // glvw 4 mb 9 tt1 1 r 0
v_mov_b32 v102, v85                                // glvw 4 mb 9 tt1 1 r 0
	;; [unrolled: 1-line block ×4, first 2 shown]
ds_bpermute_b32 v101, v96, v101, offset:128        // permute edge values
ds_bpermute_b32 v102, v96, v102, offset:128        // permute edge values
	;; [unrolled: 1-line block ×4, first 2 shown]
s_waitcnt 0                                        // wait for swizzle operation
v_mov_b32 v84, v101                                // 
v_mov_b32 v85, v102                                // 
	;; [unrolled: 1-line block ×4, first 2 shown]
s_mov_b64 s[32:33], 0xFFFFFFFFFFFFFFFF             // to restore all threads active
s_or_saveexec_b64 vcc, s[32:33]                    // all threads active
s_branch label_0246                                // done shifting


/******************************************/
/* shift d1 r=4 mb=10 vw0                 */
/******************************************/
label_0168: // r4 mb10 vw0 
s_mov_b32 s32, 18                                  // 
_v_cmpx_eq_u32 s[32:33], v100, s32                 // is thread in edge glvw region
v_and_b32 v96, 63, v[vgprSerial]                   // permute register between threads
v_lshlrev_b32 v96, 2, v96                          // permute register between threads
v_mov_b32 v101, v72                                // glvw 4 mb 10 tt1 0 r 0
v_mov_b32 v102, v73                                // glvw 4 mb 10 tt1 0 r 0
v_mov_b32 v103, v74                                // glvw 4 mb 10 tt1 0 r 0
v_mov_b32 v104, v75                                // glvw 4 mb 10 tt1 0 r 0
ds_bpermute_b32 v101, v96, v101, offset:128        // permute edge values
ds_bpermute_b32 v102, v96, v102, offset:128        // permute edge values
	;; [unrolled: 1-line block ×4, first 2 shown]
s_waitcnt 0                                        // wait for swizzle operation
v_mov_b32 v72, v101                                // 
v_mov_b32 v73, v102                                // 
	;; [unrolled: 1-line block ×4, first 2 shown]
v_mov_b32 v101, v88                                // glvw 4 mb 10 tt1 1 r 0
v_mov_b32 v102, v89                                // glvw 4 mb 10 tt1 1 r 0
v_mov_b32 v103, v90                                // glvw 4 mb 10 tt1 1 r 0
v_mov_b32 v104, v91                                // glvw 4 mb 10 tt1 1 r 0
ds_bpermute_b32 v101, v96, v101, offset:128        // permute edge values
ds_bpermute_b32 v102, v96, v102, offset:128        // permute edge values
	;; [unrolled: 1-line block ×4, first 2 shown]
s_waitcnt 0                                        // wait for swizzle operation
v_mov_b32 v88, v101                                // 
v_mov_b32 v89, v102                                // 
	;; [unrolled: 1-line block ×4, first 2 shown]
s_mov_b64 s[32:33], 0xFFFFFFFFFFFFFFFF             // to restore all threads active
s_or_saveexec_b64 vcc, s[32:33]                    // all threads active
s_branch label_0246                                // done shifting


/******************************************/
/* shift d1 r=4 mb=11 vw0                 */
/******************************************/
label_0170: // r4 mb11 vw0 
s_mov_b32 s32, 19                                  // 
_v_cmpx_eq_u32 s[32:33], v100, s32                 // is thread in edge glvw region
v_and_b32 v96, 63, v[vgprSerial]                   // permute register between threads
v_lshlrev_b32 v96, 2, v96                          // permute register between threads
v_mov_b32 v101, v76                                // glvw 4 mb 11 tt1 0 r 0
v_mov_b32 v102, v77                                // glvw 4 mb 11 tt1 0 r 0
	;; [unrolled: 1-line block ×4, first 2 shown]
ds_bpermute_b32 v101, v96, v101, offset:128        // permute edge values
ds_bpermute_b32 v102, v96, v102, offset:128        // permute edge values
	;; [unrolled: 1-line block ×4, first 2 shown]
s_waitcnt 0                                        // wait for swizzle operation
v_mov_b32 v76, v101                                // 
v_mov_b32 v77, v102                                // 
v_mov_b32 v78, v103                                // 
v_mov_b32 v79, v104                                // 
v_mov_b32 v101, v92                                // glvw 4 mb 11 tt1 1 r 0
v_mov_b32 v102, v93                                // glvw 4 mb 11 tt1 1 r 0
	;; [unrolled: 1-line block ×4, first 2 shown]
ds_bpermute_b32 v101, v96, v101, offset:128        // permute edge values
ds_bpermute_b32 v102, v96, v102, offset:128        // permute edge values
	;; [unrolled: 1-line block ×4, first 2 shown]
s_waitcnt 0                                        // wait for swizzle operation
v_mov_b32 v92, v101                                // 
v_mov_b32 v93, v102                                // 
	;; [unrolled: 1-line block ×4, first 2 shown]
s_mov_b64 s[32:33], 0xFFFFFFFFFFFFFFFF             // to restore all threads active
s_or_saveexec_b64 vcc, s[32:33]                    // all threads active
s_branch label_0246                                // done shifting


/******************************************/
/* shift d1 r=5 mb=0 vw0                  */
/******************************************/
label_0173: // r5 mb0 vw0 
s_mov_b32 s32, 0                                   // 
_v_cmpx_eq_u32 s[32:33], v100, s32                 // is thread in edge glvw region
v_and_b32 v96, 63, v[vgprSerial]                   // permute register between threads
v_lshlrev_b32 v96, 2, v96                          // permute register between threads
v_mov_b32 v101, v3                                 // glvw 5 mb 0 tt1 0 r 0
v_mov_b32 v102, v0                                 // glvw 5 mb 0 tt1 0 r 0
	;; [unrolled: 1-line block ×4, first 2 shown]
ds_bpermute_b32 v102, v96, v102, offset:128        // permute edge values
ds_bpermute_b32 v103, v96, v103, offset:128        // permute edge values
	;; [unrolled: 1-line block ×3, first 2 shown]
s_waitcnt 0                                        // wait for swizzle operation
v_mov_b32 v0, v101                                 // 
v_mov_b32 v1, v102                                 // 
	;; [unrolled: 1-line block ×4, first 2 shown]
v_mov_b32 v101, v19                                // glvw 5 mb 0 tt1 1 r 0
v_mov_b32 v102, v16                                // glvw 5 mb 0 tt1 1 r 0
v_mov_b32 v103, v17                                // glvw 5 mb 0 tt1 1 r 0
v_mov_b32 v104, v18                                // glvw 5 mb 0 tt1 1 r 0
ds_bpermute_b32 v102, v96, v102, offset:128        // permute edge values
ds_bpermute_b32 v103, v96, v103, offset:128        // permute edge values
	;; [unrolled: 1-line block ×3, first 2 shown]
s_waitcnt 0                                        // wait for swizzle operation
v_mov_b32 v16, v101                                // 
v_mov_b32 v17, v102                                // 
	;; [unrolled: 1-line block ×4, first 2 shown]
s_mov_b64 s[32:33], 0xFFFFFFFFFFFFFFFF             // to restore all threads active
s_or_saveexec_b64 vcc, s[32:33]                    // all threads active
s_branch label_0246                                // done shifting


/******************************************/
/* shift d1 r=5 mb=1 vw0                  */
/******************************************/
label_0175: // r5 mb1 vw0 
s_mov_b32 s32, 1                                   // 
_v_cmpx_eq_u32 s[32:33], v100, s32                 // is thread in edge glvw region
v_and_b32 v96, 63, v[vgprSerial]                   // permute register between threads
v_lshlrev_b32 v96, 2, v96                          // permute register between threads
v_mov_b32 v101, v7                                 // glvw 5 mb 1 tt1 0 r 0
v_mov_b32 v102, v4                                 // glvw 5 mb 1 tt1 0 r 0
	;; [unrolled: 1-line block ×4, first 2 shown]
ds_bpermute_b32 v102, v96, v102, offset:128        // permute edge values
ds_bpermute_b32 v103, v96, v103, offset:128        // permute edge values
	;; [unrolled: 1-line block ×3, first 2 shown]
s_waitcnt 0                                        // wait for swizzle operation
v_mov_b32 v4, v101                                 // 
v_mov_b32 v5, v102                                 // 
	;; [unrolled: 1-line block ×4, first 2 shown]
v_mov_b32 v101, v23                                // glvw 5 mb 1 tt1 1 r 0
v_mov_b32 v102, v20                                // glvw 5 mb 1 tt1 1 r 0
	;; [unrolled: 1-line block ×4, first 2 shown]
ds_bpermute_b32 v102, v96, v102, offset:128        // permute edge values
ds_bpermute_b32 v103, v96, v103, offset:128        // permute edge values
	;; [unrolled: 1-line block ×3, first 2 shown]
s_waitcnt 0                                        // wait for swizzle operation
v_mov_b32 v20, v101                                // 
v_mov_b32 v21, v102                                // 
	;; [unrolled: 1-line block ×4, first 2 shown]
s_mov_b64 s[32:33], 0xFFFFFFFFFFFFFFFF             // to restore all threads active
s_or_saveexec_b64 vcc, s[32:33]                    // all threads active
s_branch label_0246                                // done shifting


/******************************************/
/* shift d1 r=5 mb=2 vw0                  */
/******************************************/
label_0177: // r5 mb2 vw0 
s_mov_b32 s32, 2                                   // 
_v_cmpx_eq_u32 s[32:33], v100, s32                 // is thread in edge glvw region
v_and_b32 v96, 63, v[vgprSerial]                   // permute register between threads
v_lshlrev_b32 v96, 2, v96                          // permute register between threads
v_mov_b32 v101, v11                                // glvw 5 mb 2 tt1 0 r 0
v_mov_b32 v102, v8                                 // glvw 5 mb 2 tt1 0 r 0
v_mov_b32 v103, v9                                 // glvw 5 mb 2 tt1 0 r 0
v_mov_b32 v104, v10                                // glvw 5 mb 2 tt1 0 r 0
ds_bpermute_b32 v102, v96, v102, offset:128        // permute edge values
ds_bpermute_b32 v103, v96, v103, offset:128        // permute edge values
	;; [unrolled: 1-line block ×3, first 2 shown]
s_waitcnt 0                                        // wait for swizzle operation
v_mov_b32 v8, v101                                 // 
v_mov_b32 v9, v102                                 // 
v_mov_b32 v10, v103                                // 
v_mov_b32 v11, v104                                // 
v_mov_b32 v101, v27                                // glvw 5 mb 2 tt1 1 r 0
v_mov_b32 v102, v24                                // glvw 5 mb 2 tt1 1 r 0
	;; [unrolled: 1-line block ×4, first 2 shown]
ds_bpermute_b32 v102, v96, v102, offset:128        // permute edge values
ds_bpermute_b32 v103, v96, v103, offset:128        // permute edge values
	;; [unrolled: 1-line block ×3, first 2 shown]
s_waitcnt 0                                        // wait for swizzle operation
v_mov_b32 v24, v101                                // 
v_mov_b32 v25, v102                                // 
	;; [unrolled: 1-line block ×4, first 2 shown]
s_mov_b64 s[32:33], 0xFFFFFFFFFFFFFFFF             // to restore all threads active
s_or_saveexec_b64 vcc, s[32:33]                    // all threads active
s_branch label_0246                                // done shifting


/******************************************/
/* shift d1 r=5 mb=3 vw0                  */
/******************************************/
label_0179: // r5 mb3 vw0 
s_mov_b32 s32, 3                                   // 
_v_cmpx_eq_u32 s[32:33], v100, s32                 // is thread in edge glvw region
v_and_b32 v96, 63, v[vgprSerial]                   // permute register between threads
v_lshlrev_b32 v96, 2, v96                          // permute register between threads
v_mov_b32 v101, v15                                // glvw 5 mb 3 tt1 0 r 0
v_mov_b32 v102, v12                                // glvw 5 mb 3 tt1 0 r 0
	;; [unrolled: 1-line block ×4, first 2 shown]
ds_bpermute_b32 v102, v96, v102, offset:128        // permute edge values
ds_bpermute_b32 v103, v96, v103, offset:128        // permute edge values
	;; [unrolled: 1-line block ×3, first 2 shown]
s_waitcnt 0                                        // wait for swizzle operation
v_mov_b32 v12, v101                                // 
v_mov_b32 v13, v102                                // 
	;; [unrolled: 1-line block ×4, first 2 shown]
v_mov_b32 v101, v31                                // glvw 5 mb 3 tt1 1 r 0
v_mov_b32 v102, v28                                // glvw 5 mb 3 tt1 1 r 0
	;; [unrolled: 1-line block ×4, first 2 shown]
ds_bpermute_b32 v102, v96, v102, offset:128        // permute edge values
ds_bpermute_b32 v103, v96, v103, offset:128        // permute edge values
	;; [unrolled: 1-line block ×3, first 2 shown]
s_waitcnt 0                                        // wait for swizzle operation
v_mov_b32 v28, v101                                // 
v_mov_b32 v29, v102                                // 
	;; [unrolled: 1-line block ×4, first 2 shown]
s_mov_b64 s[32:33], 0xFFFFFFFFFFFFFFFF             // to restore all threads active
s_or_saveexec_b64 vcc, s[32:33]                    // all threads active
s_branch label_0246                                // done shifting


/******************************************/
/* shift d1 r=5 mb=4 vw0                  */
/******************************************/
label_0181: // r5 mb4 vw0 
s_mov_b32 s32, 8                                   // 
_v_cmpx_eq_u32 s[32:33], v100, s32                 // is thread in edge glvw region
v_and_b32 v96, 63, v[vgprSerial]                   // permute register between threads
v_lshlrev_b32 v96, 2, v96                          // permute register between threads
v_mov_b32 v101, v35                                // glvw 5 mb 4 tt1 0 r 0
v_mov_b32 v102, v32                                // glvw 5 mb 4 tt1 0 r 0
	;; [unrolled: 1-line block ×4, first 2 shown]
ds_bpermute_b32 v102, v96, v102, offset:128        // permute edge values
ds_bpermute_b32 v103, v96, v103, offset:128        // permute edge values
	;; [unrolled: 1-line block ×3, first 2 shown]
s_waitcnt 0                                        // wait for swizzle operation
v_mov_b32 v32, v101                                // 
v_mov_b32 v33, v102                                // 
	;; [unrolled: 1-line block ×4, first 2 shown]
v_mov_b32 v101, v51                                // glvw 5 mb 4 tt1 1 r 0
v_mov_b32 v102, v48                                // glvw 5 mb 4 tt1 1 r 0
	;; [unrolled: 1-line block ×4, first 2 shown]
ds_bpermute_b32 v102, v96, v102, offset:128        // permute edge values
ds_bpermute_b32 v103, v96, v103, offset:128        // permute edge values
	;; [unrolled: 1-line block ×3, first 2 shown]
s_waitcnt 0                                        // wait for swizzle operation
v_mov_b32 v48, v101                                // 
v_mov_b32 v49, v102                                // 
	;; [unrolled: 1-line block ×4, first 2 shown]
s_mov_b64 s[32:33], 0xFFFFFFFFFFFFFFFF             // to restore all threads active
s_or_saveexec_b64 vcc, s[32:33]                    // all threads active
s_branch label_0246                                // done shifting


/******************************************/
/* shift d1 r=5 mb=5 vw0                  */
/******************************************/
label_0183: // r5 mb5 vw0 
s_mov_b32 s32, 9                                   // 
_v_cmpx_eq_u32 s[32:33], v100, s32                 // is thread in edge glvw region
v_and_b32 v96, 63, v[vgprSerial]                   // permute register between threads
v_lshlrev_b32 v96, 2, v96                          // permute register between threads
v_mov_b32 v101, v39                                // glvw 5 mb 5 tt1 0 r 0
v_mov_b32 v102, v36                                // glvw 5 mb 5 tt1 0 r 0
	;; [unrolled: 1-line block ×4, first 2 shown]
ds_bpermute_b32 v102, v96, v102, offset:128        // permute edge values
ds_bpermute_b32 v103, v96, v103, offset:128        // permute edge values
	;; [unrolled: 1-line block ×3, first 2 shown]
s_waitcnt 0                                        // wait for swizzle operation
v_mov_b32 v36, v101                                // 
v_mov_b32 v37, v102                                // 
	;; [unrolled: 1-line block ×4, first 2 shown]
v_mov_b32 v101, v55                                // glvw 5 mb 5 tt1 1 r 0
v_mov_b32 v102, v52                                // glvw 5 mb 5 tt1 1 r 0
	;; [unrolled: 1-line block ×4, first 2 shown]
ds_bpermute_b32 v102, v96, v102, offset:128        // permute edge values
ds_bpermute_b32 v103, v96, v103, offset:128        // permute edge values
	;; [unrolled: 1-line block ×3, first 2 shown]
s_waitcnt 0                                        // wait for swizzle operation
v_mov_b32 v52, v101                                // 
v_mov_b32 v53, v102                                // 
	;; [unrolled: 1-line block ×4, first 2 shown]
s_mov_b64 s[32:33], 0xFFFFFFFFFFFFFFFF             // to restore all threads active
s_or_saveexec_b64 vcc, s[32:33]                    // all threads active
s_branch label_0246                                // done shifting


/******************************************/
/* shift d1 r=5 mb=6 vw0                  */
/******************************************/
label_0185: // r5 mb6 vw0 
s_mov_b32 s32, 10                                  // 
_v_cmpx_eq_u32 s[32:33], v100, s32                 // is thread in edge glvw region
v_and_b32 v96, 63, v[vgprSerial]                   // permute register between threads
v_lshlrev_b32 v96, 2, v96                          // permute register between threads
v_mov_b32 v101, v43                                // glvw 5 mb 6 tt1 0 r 0
v_mov_b32 v102, v40                                // glvw 5 mb 6 tt1 0 r 0
	;; [unrolled: 1-line block ×4, first 2 shown]
ds_bpermute_b32 v102, v96, v102, offset:128        // permute edge values
ds_bpermute_b32 v103, v96, v103, offset:128        // permute edge values
	;; [unrolled: 1-line block ×3, first 2 shown]
s_waitcnt 0                                        // wait for swizzle operation
v_mov_b32 v40, v101                                // 
v_mov_b32 v41, v102                                // 
	;; [unrolled: 1-line block ×4, first 2 shown]
v_mov_b32 v101, v59                                // glvw 5 mb 6 tt1 1 r 0
v_mov_b32 v102, v56                                // glvw 5 mb 6 tt1 1 r 0
	;; [unrolled: 1-line block ×4, first 2 shown]
ds_bpermute_b32 v102, v96, v102, offset:128        // permute edge values
ds_bpermute_b32 v103, v96, v103, offset:128        // permute edge values
	;; [unrolled: 1-line block ×3, first 2 shown]
s_waitcnt 0                                        // wait for swizzle operation
v_mov_b32 v56, v101                                // 
v_mov_b32 v57, v102                                // 
	;; [unrolled: 1-line block ×4, first 2 shown]
s_mov_b64 s[32:33], 0xFFFFFFFFFFFFFFFF             // to restore all threads active
s_or_saveexec_b64 vcc, s[32:33]                    // all threads active
s_branch label_0246                                // done shifting


/******************************************/
/* shift d1 r=5 mb=7 vw0                  */
/******************************************/
label_0187: // r5 mb7 vw0 
s_mov_b32 s32, 11                                  // 
_v_cmpx_eq_u32 s[32:33], v100, s32                 // is thread in edge glvw region
v_and_b32 v96, 63, v[vgprSerial]                   // permute register between threads
v_lshlrev_b32 v96, 2, v96                          // permute register between threads
v_mov_b32 v101, v47                                // glvw 5 mb 7 tt1 0 r 0
v_mov_b32 v102, v44                                // glvw 5 mb 7 tt1 0 r 0
	;; [unrolled: 1-line block ×4, first 2 shown]
ds_bpermute_b32 v102, v96, v102, offset:128        // permute edge values
ds_bpermute_b32 v103, v96, v103, offset:128        // permute edge values
	;; [unrolled: 1-line block ×3, first 2 shown]
s_waitcnt 0                                        // wait for swizzle operation
v_mov_b32 v44, v101                                // 
v_mov_b32 v45, v102                                // 
	;; [unrolled: 1-line block ×4, first 2 shown]
v_mov_b32 v101, v63                                // glvw 5 mb 7 tt1 1 r 0
v_mov_b32 v102, v60                                // glvw 5 mb 7 tt1 1 r 0
	;; [unrolled: 1-line block ×4, first 2 shown]
ds_bpermute_b32 v102, v96, v102, offset:128        // permute edge values
ds_bpermute_b32 v103, v96, v103, offset:128        // permute edge values
	;; [unrolled: 1-line block ×3, first 2 shown]
s_waitcnt 0                                        // wait for swizzle operation
v_mov_b32 v60, v101                                // 
v_mov_b32 v61, v102                                // 
	;; [unrolled: 1-line block ×4, first 2 shown]
s_mov_b64 s[32:33], 0xFFFFFFFFFFFFFFFF             // to restore all threads active
s_or_saveexec_b64 vcc, s[32:33]                    // all threads active
s_branch label_0246                                // done shifting


/******************************************/
/* shift d1 r=5 mb=8 vw0                  */
/******************************************/
label_0189: // r5 mb8 vw0 
s_mov_b32 s32, 16                                  // 
_v_cmpx_eq_u32 s[32:33], v100, s32                 // is thread in edge glvw region
v_and_b32 v96, 63, v[vgprSerial]                   // permute register between threads
v_lshlrev_b32 v96, 2, v96                          // permute register between threads
v_mov_b32 v101, v67                                // glvw 5 mb 8 tt1 0 r 0
v_mov_b32 v102, v64                                // glvw 5 mb 8 tt1 0 r 0
	;; [unrolled: 1-line block ×4, first 2 shown]
ds_bpermute_b32 v102, v96, v102, offset:128        // permute edge values
ds_bpermute_b32 v103, v96, v103, offset:128        // permute edge values
ds_bpermute_b32 v104, v96, v104, offset:128        // permute edge values
s_waitcnt 0                                        // wait for swizzle operation
v_mov_b32 v64, v101                                // 
v_mov_b32 v65, v102                                // 
	;; [unrolled: 1-line block ×4, first 2 shown]
v_mov_b32 v101, v83                                // glvw 5 mb 8 tt1 1 r 0
v_mov_b32 v102, v80                                // glvw 5 mb 8 tt1 1 r 0
	;; [unrolled: 1-line block ×4, first 2 shown]
ds_bpermute_b32 v102, v96, v102, offset:128        // permute edge values
ds_bpermute_b32 v103, v96, v103, offset:128        // permute edge values
	;; [unrolled: 1-line block ×3, first 2 shown]
s_waitcnt 0                                        // wait for swizzle operation
v_mov_b32 v80, v101                                // 
v_mov_b32 v81, v102                                // 
	;; [unrolled: 1-line block ×4, first 2 shown]
s_mov_b64 s[32:33], 0xFFFFFFFFFFFFFFFF             // to restore all threads active
s_or_saveexec_b64 vcc, s[32:33]                    // all threads active
s_branch label_0246                                // done shifting


/******************************************/
/* shift d1 r=5 mb=9 vw0                  */
/******************************************/
label_0191: // r5 mb9 vw0 
s_mov_b32 s32, 17                                  // 
_v_cmpx_eq_u32 s[32:33], v100, s32                 // is thread in edge glvw region
v_and_b32 v96, 63, v[vgprSerial]                   // permute register between threads
v_lshlrev_b32 v96, 2, v96                          // permute register between threads
v_mov_b32 v101, v71                                // glvw 5 mb 9 tt1 0 r 0
v_mov_b32 v102, v68                                // glvw 5 mb 9 tt1 0 r 0
	;; [unrolled: 1-line block ×4, first 2 shown]
ds_bpermute_b32 v102, v96, v102, offset:128        // permute edge values
ds_bpermute_b32 v103, v96, v103, offset:128        // permute edge values
	;; [unrolled: 1-line block ×3, first 2 shown]
s_waitcnt 0                                        // wait for swizzle operation
v_mov_b32 v68, v101                                // 
v_mov_b32 v69, v102                                // 
	;; [unrolled: 1-line block ×4, first 2 shown]
v_mov_b32 v101, v87                                // glvw 5 mb 9 tt1 1 r 0
v_mov_b32 v102, v84                                // glvw 5 mb 9 tt1 1 r 0
	;; [unrolled: 1-line block ×4, first 2 shown]
ds_bpermute_b32 v102, v96, v102, offset:128        // permute edge values
ds_bpermute_b32 v103, v96, v103, offset:128        // permute edge values
	;; [unrolled: 1-line block ×3, first 2 shown]
s_waitcnt 0                                        // wait for swizzle operation
v_mov_b32 v84, v101                                // 
v_mov_b32 v85, v102                                // 
	;; [unrolled: 1-line block ×4, first 2 shown]
s_mov_b64 s[32:33], 0xFFFFFFFFFFFFFFFF             // to restore all threads active
s_or_saveexec_b64 vcc, s[32:33]                    // all threads active
s_branch label_0246                                // done shifting


/******************************************/
/* shift d1 r=5 mb=10 vw0                 */
/******************************************/
label_0193: // r5 mb10 vw0 
s_mov_b32 s32, 18                                  // 
_v_cmpx_eq_u32 s[32:33], v100, s32                 // is thread in edge glvw region
v_and_b32 v96, 63, v[vgprSerial]                   // permute register between threads
v_lshlrev_b32 v96, 2, v96                          // permute register between threads
v_mov_b32 v101, v75                                // glvw 5 mb 10 tt1 0 r 0
v_mov_b32 v102, v72                                // glvw 5 mb 10 tt1 0 r 0
	;; [unrolled: 1-line block ×4, first 2 shown]
ds_bpermute_b32 v102, v96, v102, offset:128        // permute edge values
ds_bpermute_b32 v103, v96, v103, offset:128        // permute edge values
	;; [unrolled: 1-line block ×3, first 2 shown]
s_waitcnt 0                                        // wait for swizzle operation
v_mov_b32 v72, v101                                // 
v_mov_b32 v73, v102                                // 
	;; [unrolled: 1-line block ×4, first 2 shown]
v_mov_b32 v101, v91                                // glvw 5 mb 10 tt1 1 r 0
v_mov_b32 v102, v88                                // glvw 5 mb 10 tt1 1 r 0
v_mov_b32 v103, v89                                // glvw 5 mb 10 tt1 1 r 0
v_mov_b32 v104, v90                                // glvw 5 mb 10 tt1 1 r 0
ds_bpermute_b32 v102, v96, v102, offset:128        // permute edge values
ds_bpermute_b32 v103, v96, v103, offset:128        // permute edge values
	;; [unrolled: 1-line block ×3, first 2 shown]
s_waitcnt 0                                        // wait for swizzle operation
v_mov_b32 v88, v101                                // 
v_mov_b32 v89, v102                                // 
	;; [unrolled: 1-line block ×4, first 2 shown]
s_mov_b64 s[32:33], 0xFFFFFFFFFFFFFFFF             // to restore all threads active
s_or_saveexec_b64 vcc, s[32:33]                    // all threads active
s_branch label_0246                                // done shifting


/******************************************/
/* shift d1 r=5 mb=11 vw0                 */
/******************************************/
label_0195: // r5 mb11 vw0 
s_mov_b32 s32, 19                                  // 
_v_cmpx_eq_u32 s[32:33], v100, s32                 // is thread in edge glvw region
v_and_b32 v96, 63, v[vgprSerial]                   // permute register between threads
v_lshlrev_b32 v96, 2, v96                          // permute register between threads
v_mov_b32 v101, v79                                // glvw 5 mb 11 tt1 0 r 0
v_mov_b32 v102, v76                                // glvw 5 mb 11 tt1 0 r 0
	;; [unrolled: 1-line block ×4, first 2 shown]
ds_bpermute_b32 v102, v96, v102, offset:128        // permute edge values
ds_bpermute_b32 v103, v96, v103, offset:128        // permute edge values
	;; [unrolled: 1-line block ×3, first 2 shown]
s_waitcnt 0                                        // wait for swizzle operation
v_mov_b32 v76, v101                                // 
v_mov_b32 v77, v102                                // 
	;; [unrolled: 1-line block ×4, first 2 shown]
v_mov_b32 v101, v95                                // glvw 5 mb 11 tt1 1 r 0
v_mov_b32 v102, v92                                // glvw 5 mb 11 tt1 1 r 0
	;; [unrolled: 1-line block ×4, first 2 shown]
ds_bpermute_b32 v102, v96, v102, offset:128        // permute edge values
ds_bpermute_b32 v103, v96, v103, offset:128        // permute edge values
	;; [unrolled: 1-line block ×3, first 2 shown]
s_waitcnt 0                                        // wait for swizzle operation
v_mov_b32 v92, v101                                // 
v_mov_b32 v93, v102                                // 
	;; [unrolled: 1-line block ×4, first 2 shown]
s_mov_b64 s[32:33], 0xFFFFFFFFFFFFFFFF             // to restore all threads active
s_or_saveexec_b64 vcc, s[32:33]                    // all threads active
s_branch label_0246                                // done shifting


/******************************************/
/* shift d1 r=6 mb=0 vw0                  */
/******************************************/
label_0198: // r6 mb0 vw0 
s_mov_b32 s32, 0                                   // 
_v_cmpx_eq_u32 s[32:33], v100, s32                 // is thread in edge glvw region
v_and_b32 v96, 63, v[vgprSerial]                   // permute register between threads
v_lshlrev_b32 v96, 2, v96                          // permute register between threads
v_mov_b32 v101, v2                                 // glvw 6 mb 0 tt1 0 r 0
v_mov_b32 v102, v3                                 // glvw 6 mb 0 tt1 0 r 0
v_mov_b32 v103, v0                                 // glvw 6 mb 0 tt1 0 r 0
v_mov_b32 v104, v1                                 // glvw 6 mb 0 tt1 0 r 0
ds_bpermute_b32 v103, v96, v103, offset:128        // permute edge values
ds_bpermute_b32 v104, v96, v104, offset:128        // permute edge values
s_waitcnt 0                                        // wait for swizzle operation
v_mov_b32 v0, v101                                 // 
v_mov_b32 v1, v102                                 // 
	;; [unrolled: 1-line block ×4, first 2 shown]
v_mov_b32 v101, v18                                // glvw 6 mb 0 tt1 1 r 0
v_mov_b32 v102, v19                                // glvw 6 mb 0 tt1 1 r 0
	;; [unrolled: 1-line block ×4, first 2 shown]
ds_bpermute_b32 v103, v96, v103, offset:128        // permute edge values
ds_bpermute_b32 v104, v96, v104, offset:128        // permute edge values
s_waitcnt 0                                        // wait for swizzle operation
v_mov_b32 v16, v101                                // 
v_mov_b32 v17, v102                                // 
	;; [unrolled: 1-line block ×4, first 2 shown]
s_mov_b64 s[32:33], 0xFFFFFFFFFFFFFFFF             // to restore all threads active
s_or_saveexec_b64 vcc, s[32:33]                    // all threads active
s_branch label_0246                                // done shifting


/******************************************/
/* shift d1 r=6 mb=1 vw0                  */
/******************************************/
label_0200: // r6 mb1 vw0 
s_mov_b32 s32, 1                                   // 
_v_cmpx_eq_u32 s[32:33], v100, s32                 // is thread in edge glvw region
v_and_b32 v96, 63, v[vgprSerial]                   // permute register between threads
v_lshlrev_b32 v96, 2, v96                          // permute register between threads
v_mov_b32 v101, v6                                 // glvw 6 mb 1 tt1 0 r 0
v_mov_b32 v102, v7                                 // glvw 6 mb 1 tt1 0 r 0
	;; [unrolled: 1-line block ×4, first 2 shown]
ds_bpermute_b32 v103, v96, v103, offset:128        // permute edge values
ds_bpermute_b32 v104, v96, v104, offset:128        // permute edge values
s_waitcnt 0                                        // wait for swizzle operation
v_mov_b32 v4, v101                                 // 
v_mov_b32 v5, v102                                 // 
	;; [unrolled: 1-line block ×4, first 2 shown]
v_mov_b32 v101, v22                                // glvw 6 mb 1 tt1 1 r 0
v_mov_b32 v102, v23                                // glvw 6 mb 1 tt1 1 r 0
	;; [unrolled: 1-line block ×4, first 2 shown]
ds_bpermute_b32 v103, v96, v103, offset:128        // permute edge values
ds_bpermute_b32 v104, v96, v104, offset:128        // permute edge values
s_waitcnt 0                                        // wait for swizzle operation
v_mov_b32 v20, v101                                // 
v_mov_b32 v21, v102                                // 
	;; [unrolled: 1-line block ×4, first 2 shown]
s_mov_b64 s[32:33], 0xFFFFFFFFFFFFFFFF             // to restore all threads active
s_or_saveexec_b64 vcc, s[32:33]                    // all threads active
s_branch label_0246                                // done shifting


/******************************************/
/* shift d1 r=6 mb=2 vw0                  */
/******************************************/
label_0202: // r6 mb2 vw0 
s_mov_b32 s32, 2                                   // 
_v_cmpx_eq_u32 s[32:33], v100, s32                 // is thread in edge glvw region
v_and_b32 v96, 63, v[vgprSerial]                   // permute register between threads
v_lshlrev_b32 v96, 2, v96                          // permute register between threads
v_mov_b32 v101, v10                                // glvw 6 mb 2 tt1 0 r 0
v_mov_b32 v102, v11                                // glvw 6 mb 2 tt1 0 r 0
v_mov_b32 v103, v8                                 // glvw 6 mb 2 tt1 0 r 0
v_mov_b32 v104, v9                                 // glvw 6 mb 2 tt1 0 r 0
ds_bpermute_b32 v103, v96, v103, offset:128        // permute edge values
ds_bpermute_b32 v104, v96, v104, offset:128        // permute edge values
s_waitcnt 0                                        // wait for swizzle operation
v_mov_b32 v8, v101                                 // 
v_mov_b32 v9, v102                                 // 
v_mov_b32 v10, v103                                // 
v_mov_b32 v11, v104                                // 
v_mov_b32 v101, v26                                // glvw 6 mb 2 tt1 1 r 0
v_mov_b32 v102, v27                                // glvw 6 mb 2 tt1 1 r 0
	;; [unrolled: 1-line block ×4, first 2 shown]
ds_bpermute_b32 v103, v96, v103, offset:128        // permute edge values
ds_bpermute_b32 v104, v96, v104, offset:128        // permute edge values
s_waitcnt 0                                        // wait for swizzle operation
v_mov_b32 v24, v101                                // 
v_mov_b32 v25, v102                                // 
	;; [unrolled: 1-line block ×4, first 2 shown]
s_mov_b64 s[32:33], 0xFFFFFFFFFFFFFFFF             // to restore all threads active
s_or_saveexec_b64 vcc, s[32:33]                    // all threads active
s_branch label_0246                                // done shifting


/******************************************/
/* shift d1 r=6 mb=3 vw0                  */
/******************************************/
label_0204: // r6 mb3 vw0 
s_mov_b32 s32, 3                                   // 
_v_cmpx_eq_u32 s[32:33], v100, s32                 // is thread in edge glvw region
v_and_b32 v96, 63, v[vgprSerial]                   // permute register between threads
v_lshlrev_b32 v96, 2, v96                          // permute register between threads
v_mov_b32 v101, v14                                // glvw 6 mb 3 tt1 0 r 0
v_mov_b32 v102, v15                                // glvw 6 mb 3 tt1 0 r 0
	;; [unrolled: 1-line block ×4, first 2 shown]
ds_bpermute_b32 v103, v96, v103, offset:128        // permute edge values
ds_bpermute_b32 v104, v96, v104, offset:128        // permute edge values
s_waitcnt 0                                        // wait for swizzle operation
v_mov_b32 v12, v101                                // 
v_mov_b32 v13, v102                                // 
	;; [unrolled: 1-line block ×4, first 2 shown]
v_mov_b32 v101, v30                                // glvw 6 mb 3 tt1 1 r 0
v_mov_b32 v102, v31                                // glvw 6 mb 3 tt1 1 r 0
	;; [unrolled: 1-line block ×4, first 2 shown]
ds_bpermute_b32 v103, v96, v103, offset:128        // permute edge values
ds_bpermute_b32 v104, v96, v104, offset:128        // permute edge values
s_waitcnt 0                                        // wait for swizzle operation
v_mov_b32 v28, v101                                // 
v_mov_b32 v29, v102                                // 
	;; [unrolled: 1-line block ×4, first 2 shown]
s_mov_b64 s[32:33], 0xFFFFFFFFFFFFFFFF             // to restore all threads active
s_or_saveexec_b64 vcc, s[32:33]                    // all threads active
s_branch label_0246                                // done shifting


/******************************************/
/* shift d1 r=6 mb=4 vw0                  */
/******************************************/
label_0206: // r6 mb4 vw0 
s_mov_b32 s32, 8                                   // 
_v_cmpx_eq_u32 s[32:33], v100, s32                 // is thread in edge glvw region
v_and_b32 v96, 63, v[vgprSerial]                   // permute register between threads
v_lshlrev_b32 v96, 2, v96                          // permute register between threads
v_mov_b32 v101, v34                                // glvw 6 mb 4 tt1 0 r 0
v_mov_b32 v102, v35                                // glvw 6 mb 4 tt1 0 r 0
	;; [unrolled: 1-line block ×4, first 2 shown]
ds_bpermute_b32 v103, v96, v103, offset:128        // permute edge values
ds_bpermute_b32 v104, v96, v104, offset:128        // permute edge values
s_waitcnt 0                                        // wait for swizzle operation
v_mov_b32 v32, v101                                // 
v_mov_b32 v33, v102                                // 
	;; [unrolled: 1-line block ×4, first 2 shown]
v_mov_b32 v101, v50                                // glvw 6 mb 4 tt1 1 r 0
v_mov_b32 v102, v51                                // glvw 6 mb 4 tt1 1 r 0
	;; [unrolled: 1-line block ×4, first 2 shown]
ds_bpermute_b32 v103, v96, v103, offset:128        // permute edge values
ds_bpermute_b32 v104, v96, v104, offset:128        // permute edge values
s_waitcnt 0                                        // wait for swizzle operation
v_mov_b32 v48, v101                                // 
v_mov_b32 v49, v102                                // 
	;; [unrolled: 1-line block ×4, first 2 shown]
s_mov_b64 s[32:33], 0xFFFFFFFFFFFFFFFF             // to restore all threads active
s_or_saveexec_b64 vcc, s[32:33]                    // all threads active
s_branch label_0246                                // done shifting


/******************************************/
/* shift d1 r=6 mb=5 vw0                  */
/******************************************/
label_0208: // r6 mb5 vw0 
s_mov_b32 s32, 9                                   // 
_v_cmpx_eq_u32 s[32:33], v100, s32                 // is thread in edge glvw region
v_and_b32 v96, 63, v[vgprSerial]                   // permute register between threads
v_lshlrev_b32 v96, 2, v96                          // permute register between threads
v_mov_b32 v101, v38                                // glvw 6 mb 5 tt1 0 r 0
v_mov_b32 v102, v39                                // glvw 6 mb 5 tt1 0 r 0
	;; [unrolled: 1-line block ×4, first 2 shown]
ds_bpermute_b32 v103, v96, v103, offset:128        // permute edge values
ds_bpermute_b32 v104, v96, v104, offset:128        // permute edge values
s_waitcnt 0                                        // wait for swizzle operation
v_mov_b32 v36, v101                                // 
v_mov_b32 v37, v102                                // 
	;; [unrolled: 1-line block ×4, first 2 shown]
v_mov_b32 v101, v54                                // glvw 6 mb 5 tt1 1 r 0
v_mov_b32 v102, v55                                // glvw 6 mb 5 tt1 1 r 0
	;; [unrolled: 1-line block ×4, first 2 shown]
ds_bpermute_b32 v103, v96, v103, offset:128        // permute edge values
ds_bpermute_b32 v104, v96, v104, offset:128        // permute edge values
s_waitcnt 0                                        // wait for swizzle operation
v_mov_b32 v52, v101                                // 
v_mov_b32 v53, v102                                // 
	;; [unrolled: 1-line block ×4, first 2 shown]
s_mov_b64 s[32:33], 0xFFFFFFFFFFFFFFFF             // to restore all threads active
s_or_saveexec_b64 vcc, s[32:33]                    // all threads active
s_branch label_0246                                // done shifting


/******************************************/
/* shift d1 r=6 mb=6 vw0                  */
/******************************************/
label_0210: // r6 mb6 vw0 
s_mov_b32 s32, 10                                  // 
_v_cmpx_eq_u32 s[32:33], v100, s32                 // is thread in edge glvw region
v_and_b32 v96, 63, v[vgprSerial]                   // permute register between threads
v_lshlrev_b32 v96, 2, v96                          // permute register between threads
v_mov_b32 v101, v42                                // glvw 6 mb 6 tt1 0 r 0
v_mov_b32 v102, v43                                // glvw 6 mb 6 tt1 0 r 0
	;; [unrolled: 1-line block ×4, first 2 shown]
ds_bpermute_b32 v103, v96, v103, offset:128        // permute edge values
ds_bpermute_b32 v104, v96, v104, offset:128        // permute edge values
s_waitcnt 0                                        // wait for swizzle operation
v_mov_b32 v40, v101                                // 
v_mov_b32 v41, v102                                // 
	;; [unrolled: 1-line block ×4, first 2 shown]
v_mov_b32 v101, v58                                // glvw 6 mb 6 tt1 1 r 0
v_mov_b32 v102, v59                                // glvw 6 mb 6 tt1 1 r 0
	;; [unrolled: 1-line block ×4, first 2 shown]
ds_bpermute_b32 v103, v96, v103, offset:128        // permute edge values
ds_bpermute_b32 v104, v96, v104, offset:128        // permute edge values
s_waitcnt 0                                        // wait for swizzle operation
v_mov_b32 v56, v101                                // 
v_mov_b32 v57, v102                                // 
	;; [unrolled: 1-line block ×4, first 2 shown]
s_mov_b64 s[32:33], 0xFFFFFFFFFFFFFFFF             // to restore all threads active
s_or_saveexec_b64 vcc, s[32:33]                    // all threads active
s_branch label_0246                                // done shifting


/******************************************/
/* shift d1 r=6 mb=7 vw0                  */
/******************************************/
label_0212: // r6 mb7 vw0 
s_mov_b32 s32, 11                                  // 
_v_cmpx_eq_u32 s[32:33], v100, s32                 // is thread in edge glvw region
v_and_b32 v96, 63, v[vgprSerial]                   // permute register between threads
v_lshlrev_b32 v96, 2, v96                          // permute register between threads
v_mov_b32 v101, v46                                // glvw 6 mb 7 tt1 0 r 0
v_mov_b32 v102, v47                                // glvw 6 mb 7 tt1 0 r 0
	;; [unrolled: 1-line block ×4, first 2 shown]
ds_bpermute_b32 v103, v96, v103, offset:128        // permute edge values
ds_bpermute_b32 v104, v96, v104, offset:128        // permute edge values
s_waitcnt 0                                        // wait for swizzle operation
v_mov_b32 v44, v101                                // 
v_mov_b32 v45, v102                                // 
v_mov_b32 v46, v103                                // 
v_mov_b32 v47, v104                                // 
v_mov_b32 v101, v62                                // glvw 6 mb 7 tt1 1 r 0
v_mov_b32 v102, v63                                // glvw 6 mb 7 tt1 1 r 0
	;; [unrolled: 1-line block ×4, first 2 shown]
ds_bpermute_b32 v103, v96, v103, offset:128        // permute edge values
ds_bpermute_b32 v104, v96, v104, offset:128        // permute edge values
s_waitcnt 0                                        // wait for swizzle operation
v_mov_b32 v60, v101                                // 
v_mov_b32 v61, v102                                // 
	;; [unrolled: 1-line block ×4, first 2 shown]
s_mov_b64 s[32:33], 0xFFFFFFFFFFFFFFFF             // to restore all threads active
s_or_saveexec_b64 vcc, s[32:33]                    // all threads active
s_branch label_0246                                // done shifting


/******************************************/
/* shift d1 r=6 mb=8 vw0                  */
/******************************************/
label_0214: // r6 mb8 vw0 
s_mov_b32 s32, 16                                  // 
_v_cmpx_eq_u32 s[32:33], v100, s32                 // is thread in edge glvw region
v_and_b32 v96, 63, v[vgprSerial]                   // permute register between threads
v_lshlrev_b32 v96, 2, v96                          // permute register between threads
v_mov_b32 v101, v66                                // glvw 6 mb 8 tt1 0 r 0
v_mov_b32 v102, v67                                // glvw 6 mb 8 tt1 0 r 0
	;; [unrolled: 1-line block ×4, first 2 shown]
ds_bpermute_b32 v103, v96, v103, offset:128        // permute edge values
ds_bpermute_b32 v104, v96, v104, offset:128        // permute edge values
s_waitcnt 0                                        // wait for swizzle operation
v_mov_b32 v64, v101                                // 
v_mov_b32 v65, v102                                // 
	;; [unrolled: 1-line block ×4, first 2 shown]
v_mov_b32 v101, v82                                // glvw 6 mb 8 tt1 1 r 0
v_mov_b32 v102, v83                                // glvw 6 mb 8 tt1 1 r 0
	;; [unrolled: 1-line block ×4, first 2 shown]
ds_bpermute_b32 v103, v96, v103, offset:128        // permute edge values
ds_bpermute_b32 v104, v96, v104, offset:128        // permute edge values
s_waitcnt 0                                        // wait for swizzle operation
v_mov_b32 v80, v101                                // 
v_mov_b32 v81, v102                                // 
	;; [unrolled: 1-line block ×4, first 2 shown]
s_mov_b64 s[32:33], 0xFFFFFFFFFFFFFFFF             // to restore all threads active
s_or_saveexec_b64 vcc, s[32:33]                    // all threads active
s_branch label_0246                                // done shifting


/******************************************/
/* shift d1 r=6 mb=9 vw0                  */
/******************************************/
label_0216: // r6 mb9 vw0 
s_mov_b32 s32, 17                                  // 
_v_cmpx_eq_u32 s[32:33], v100, s32                 // is thread in edge glvw region
v_and_b32 v96, 63, v[vgprSerial]                   // permute register between threads
v_lshlrev_b32 v96, 2, v96                          // permute register between threads
v_mov_b32 v101, v70                                // glvw 6 mb 9 tt1 0 r 0
v_mov_b32 v102, v71                                // glvw 6 mb 9 tt1 0 r 0
	;; [unrolled: 1-line block ×4, first 2 shown]
ds_bpermute_b32 v103, v96, v103, offset:128        // permute edge values
ds_bpermute_b32 v104, v96, v104, offset:128        // permute edge values
s_waitcnt 0                                        // wait for swizzle operation
v_mov_b32 v68, v101                                // 
v_mov_b32 v69, v102                                // 
	;; [unrolled: 1-line block ×4, first 2 shown]
v_mov_b32 v101, v86                                // glvw 6 mb 9 tt1 1 r 0
v_mov_b32 v102, v87                                // glvw 6 mb 9 tt1 1 r 0
v_mov_b32 v103, v84                                // glvw 6 mb 9 tt1 1 r 0
v_mov_b32 v104, v85                                // glvw 6 mb 9 tt1 1 r 0
ds_bpermute_b32 v103, v96, v103, offset:128        // permute edge values
ds_bpermute_b32 v104, v96, v104, offset:128        // permute edge values
s_waitcnt 0                                        // wait for swizzle operation
v_mov_b32 v84, v101                                // 
v_mov_b32 v85, v102                                // 
	;; [unrolled: 1-line block ×4, first 2 shown]
s_mov_b64 s[32:33], 0xFFFFFFFFFFFFFFFF             // to restore all threads active
s_or_saveexec_b64 vcc, s[32:33]                    // all threads active
s_branch label_0246                                // done shifting


/******************************************/
/* shift d1 r=6 mb=10 vw0                 */
/******************************************/
label_0218: // r6 mb10 vw0 
s_mov_b32 s32, 18                                  // 
_v_cmpx_eq_u32 s[32:33], v100, s32                 // is thread in edge glvw region
v_and_b32 v96, 63, v[vgprSerial]                   // permute register between threads
v_lshlrev_b32 v96, 2, v96                          // permute register between threads
v_mov_b32 v101, v74                                // glvw 6 mb 10 tt1 0 r 0
v_mov_b32 v102, v75                                // glvw 6 mb 10 tt1 0 r 0
	;; [unrolled: 1-line block ×4, first 2 shown]
ds_bpermute_b32 v103, v96, v103, offset:128        // permute edge values
ds_bpermute_b32 v104, v96, v104, offset:128        // permute edge values
s_waitcnt 0                                        // wait for swizzle operation
v_mov_b32 v72, v101                                // 
v_mov_b32 v73, v102                                // 
v_mov_b32 v74, v103                                // 
v_mov_b32 v75, v104                                // 
v_mov_b32 v101, v90                                // glvw 6 mb 10 tt1 1 r 0
v_mov_b32 v102, v91                                // glvw 6 mb 10 tt1 1 r 0
	;; [unrolled: 1-line block ×4, first 2 shown]
ds_bpermute_b32 v103, v96, v103, offset:128        // permute edge values
ds_bpermute_b32 v104, v96, v104, offset:128        // permute edge values
s_waitcnt 0                                        // wait for swizzle operation
v_mov_b32 v88, v101                                // 
v_mov_b32 v89, v102                                // 
	;; [unrolled: 1-line block ×4, first 2 shown]
s_mov_b64 s[32:33], 0xFFFFFFFFFFFFFFFF             // to restore all threads active
s_or_saveexec_b64 vcc, s[32:33]                    // all threads active
s_branch label_0246                                // done shifting


/******************************************/
/* shift d1 r=6 mb=11 vw0                 */
/******************************************/
label_0220: // r6 mb11 vw0 
s_mov_b32 s32, 19                                  // 
_v_cmpx_eq_u32 s[32:33], v100, s32                 // is thread in edge glvw region
v_and_b32 v96, 63, v[vgprSerial]                   // permute register between threads
v_lshlrev_b32 v96, 2, v96                          // permute register between threads
v_mov_b32 v101, v78                                // glvw 6 mb 11 tt1 0 r 0
v_mov_b32 v102, v79                                // glvw 6 mb 11 tt1 0 r 0
v_mov_b32 v103, v76                                // glvw 6 mb 11 tt1 0 r 0
v_mov_b32 v104, v77                                // glvw 6 mb 11 tt1 0 r 0
ds_bpermute_b32 v103, v96, v103, offset:128        // permute edge values
ds_bpermute_b32 v104, v96, v104, offset:128        // permute edge values
s_waitcnt 0                                        // wait for swizzle operation
v_mov_b32 v76, v101                                // 
v_mov_b32 v77, v102                                // 
v_mov_b32 v78, v103                                // 
v_mov_b32 v79, v104                                // 
v_mov_b32 v101, v94                                // glvw 6 mb 11 tt1 1 r 0
v_mov_b32 v102, v95                                // glvw 6 mb 11 tt1 1 r 0
	;; [unrolled: 1-line block ×4, first 2 shown]
ds_bpermute_b32 v103, v96, v103, offset:128        // permute edge values
ds_bpermute_b32 v104, v96, v104, offset:128        // permute edge values
s_waitcnt 0                                        // wait for swizzle operation
v_mov_b32 v92, v101                                // 
v_mov_b32 v93, v102                                // 
	;; [unrolled: 1-line block ×4, first 2 shown]
s_mov_b64 s[32:33], 0xFFFFFFFFFFFFFFFF             // to restore all threads active
s_or_saveexec_b64 vcc, s[32:33]                    // all threads active
s_branch label_0246                                // done shifting


/******************************************/
/* shift d1 r=7 mb=0 vw0                  */
/******************************************/
label_0223: // r7 mb0 vw0 
s_mov_b32 s32, 0                                   // 
_v_cmpx_eq_u32 s[32:33], v100, s32                 // is thread in edge glvw region
v_and_b32 v96, 63, v[vgprSerial]                   // permute register between threads
v_lshlrev_b32 v96, 2, v96                          // permute register between threads
v_mov_b32 v101, v1                                 // glvw 7 mb 0 tt1 0 r 0
v_mov_b32 v102, v2                                 // glvw 7 mb 0 tt1 0 r 0
v_mov_b32 v103, v3                                 // glvw 7 mb 0 tt1 0 r 0
v_mov_b32 v104, v0                                 // glvw 7 mb 0 tt1 0 r 0
ds_bpermute_b32 v104, v96, v104, offset:128        // permute edge values
s_waitcnt 0                                        // wait for swizzle operation
v_mov_b32 v0, v101                                 // 
v_mov_b32 v1, v102                                 // 
v_mov_b32 v2, v103                                 // 
v_mov_b32 v3, v104                                 // 
v_mov_b32 v101, v17                                // glvw 7 mb 0 tt1 1 r 0
v_mov_b32 v102, v18                                // glvw 7 mb 0 tt1 1 r 0
	;; [unrolled: 1-line block ×4, first 2 shown]
ds_bpermute_b32 v104, v96, v104, offset:128        // permute edge values
s_waitcnt 0                                        // wait for swizzle operation
v_mov_b32 v16, v101                                // 
v_mov_b32 v17, v102                                // 
	;; [unrolled: 1-line block ×4, first 2 shown]
s_mov_b64 s[32:33], 0xFFFFFFFFFFFFFFFF             // to restore all threads active
s_or_saveexec_b64 vcc, s[32:33]                    // all threads active
s_branch label_0246                                // done shifting


/******************************************/
/* shift d1 r=7 mb=1 vw0                  */
/******************************************/
label_0225: // r7 mb1 vw0 
s_mov_b32 s32, 1                                   // 
_v_cmpx_eq_u32 s[32:33], v100, s32                 // is thread in edge glvw region
v_and_b32 v96, 63, v[vgprSerial]                   // permute register between threads
v_lshlrev_b32 v96, 2, v96                          // permute register between threads
v_mov_b32 v101, v5                                 // glvw 7 mb 1 tt1 0 r 0
v_mov_b32 v102, v6                                 // glvw 7 mb 1 tt1 0 r 0
	;; [unrolled: 1-line block ×4, first 2 shown]
ds_bpermute_b32 v104, v96, v104, offset:128        // permute edge values
s_waitcnt 0                                        // wait for swizzle operation
v_mov_b32 v4, v101                                 // 
v_mov_b32 v5, v102                                 // 
	;; [unrolled: 1-line block ×4, first 2 shown]
v_mov_b32 v101, v21                                // glvw 7 mb 1 tt1 1 r 0
v_mov_b32 v102, v22                                // glvw 7 mb 1 tt1 1 r 0
	;; [unrolled: 1-line block ×4, first 2 shown]
ds_bpermute_b32 v104, v96, v104, offset:128        // permute edge values
s_waitcnt 0                                        // wait for swizzle operation
v_mov_b32 v20, v101                                // 
v_mov_b32 v21, v102                                // 
	;; [unrolled: 1-line block ×4, first 2 shown]
s_mov_b64 s[32:33], 0xFFFFFFFFFFFFFFFF             // to restore all threads active
s_or_saveexec_b64 vcc, s[32:33]                    // all threads active
s_branch label_0246                                // done shifting


/******************************************/
/* shift d1 r=7 mb=2 vw0                  */
/******************************************/
label_0227: // r7 mb2 vw0 
s_mov_b32 s32, 2                                   // 
_v_cmpx_eq_u32 s[32:33], v100, s32                 // is thread in edge glvw region
v_and_b32 v96, 63, v[vgprSerial]                   // permute register between threads
v_lshlrev_b32 v96, 2, v96                          // permute register between threads
v_mov_b32 v101, v9                                 // glvw 7 mb 2 tt1 0 r 0
v_mov_b32 v102, v10                                // glvw 7 mb 2 tt1 0 r 0
v_mov_b32 v103, v11                                // glvw 7 mb 2 tt1 0 r 0
v_mov_b32 v104, v8                                 // glvw 7 mb 2 tt1 0 r 0
ds_bpermute_b32 v104, v96, v104, offset:128        // permute edge values
s_waitcnt 0                                        // wait for swizzle operation
v_mov_b32 v8, v101                                 // 
v_mov_b32 v9, v102                                 // 
v_mov_b32 v10, v103                                // 
v_mov_b32 v11, v104                                // 
v_mov_b32 v101, v25                                // glvw 7 mb 2 tt1 1 r 0
v_mov_b32 v102, v26                                // glvw 7 mb 2 tt1 1 r 0
	;; [unrolled: 1-line block ×4, first 2 shown]
ds_bpermute_b32 v104, v96, v104, offset:128        // permute edge values
s_waitcnt 0                                        // wait for swizzle operation
v_mov_b32 v24, v101                                // 
v_mov_b32 v25, v102                                // 
	;; [unrolled: 1-line block ×4, first 2 shown]
s_mov_b64 s[32:33], 0xFFFFFFFFFFFFFFFF             // to restore all threads active
s_or_saveexec_b64 vcc, s[32:33]                    // all threads active
s_branch label_0246                                // done shifting


/******************************************/
/* shift d1 r=7 mb=3 vw0                  */
/******************************************/
label_0229: // r7 mb3 vw0 
s_mov_b32 s32, 3                                   // 
_v_cmpx_eq_u32 s[32:33], v100, s32                 // is thread in edge glvw region
v_and_b32 v96, 63, v[vgprSerial]                   // permute register between threads
v_lshlrev_b32 v96, 2, v96                          // permute register between threads
v_mov_b32 v101, v13                                // glvw 7 mb 3 tt1 0 r 0
v_mov_b32 v102, v14                                // glvw 7 mb 3 tt1 0 r 0
	;; [unrolled: 1-line block ×4, first 2 shown]
ds_bpermute_b32 v104, v96, v104, offset:128        // permute edge values
s_waitcnt 0                                        // wait for swizzle operation
v_mov_b32 v12, v101                                // 
v_mov_b32 v13, v102                                // 
	;; [unrolled: 1-line block ×4, first 2 shown]
v_mov_b32 v101, v29                                // glvw 7 mb 3 tt1 1 r 0
v_mov_b32 v102, v30                                // glvw 7 mb 3 tt1 1 r 0
	;; [unrolled: 1-line block ×4, first 2 shown]
ds_bpermute_b32 v104, v96, v104, offset:128        // permute edge values
s_waitcnt 0                                        // wait for swizzle operation
v_mov_b32 v28, v101                                // 
v_mov_b32 v29, v102                                // 
	;; [unrolled: 1-line block ×4, first 2 shown]
s_mov_b64 s[32:33], 0xFFFFFFFFFFFFFFFF             // to restore all threads active
s_or_saveexec_b64 vcc, s[32:33]                    // all threads active
s_branch label_0246                                // done shifting


/******************************************/
/* shift d1 r=7 mb=4 vw0                  */
/******************************************/
label_0231: // r7 mb4 vw0 
s_mov_b32 s32, 8                                   // 
_v_cmpx_eq_u32 s[32:33], v100, s32                 // is thread in edge glvw region
v_and_b32 v96, 63, v[vgprSerial]                   // permute register between threads
v_lshlrev_b32 v96, 2, v96                          // permute register between threads
v_mov_b32 v101, v33                                // glvw 7 mb 4 tt1 0 r 0
v_mov_b32 v102, v34                                // glvw 7 mb 4 tt1 0 r 0
	;; [unrolled: 1-line block ×4, first 2 shown]
ds_bpermute_b32 v104, v96, v104, offset:128        // permute edge values
s_waitcnt 0                                        // wait for swizzle operation
v_mov_b32 v32, v101                                // 
v_mov_b32 v33, v102                                // 
	;; [unrolled: 1-line block ×4, first 2 shown]
v_mov_b32 v101, v49                                // glvw 7 mb 4 tt1 1 r 0
v_mov_b32 v102, v50                                // glvw 7 mb 4 tt1 1 r 0
	;; [unrolled: 1-line block ×4, first 2 shown]
ds_bpermute_b32 v104, v96, v104, offset:128        // permute edge values
s_waitcnt 0                                        // wait for swizzle operation
v_mov_b32 v48, v101                                // 
v_mov_b32 v49, v102                                // 
	;; [unrolled: 1-line block ×4, first 2 shown]
s_mov_b64 s[32:33], 0xFFFFFFFFFFFFFFFF             // to restore all threads active
s_or_saveexec_b64 vcc, s[32:33]                    // all threads active
s_branch label_0246                                // done shifting


/******************************************/
/* shift d1 r=7 mb=5 vw0                  */
/******************************************/
label_0233: // r7 mb5 vw0 
s_mov_b32 s32, 9                                   // 
_v_cmpx_eq_u32 s[32:33], v100, s32                 // is thread in edge glvw region
v_and_b32 v96, 63, v[vgprSerial]                   // permute register between threads
v_lshlrev_b32 v96, 2, v96                          // permute register between threads
v_mov_b32 v101, v37                                // glvw 7 mb 5 tt1 0 r 0
v_mov_b32 v102, v38                                // glvw 7 mb 5 tt1 0 r 0
	;; [unrolled: 1-line block ×4, first 2 shown]
ds_bpermute_b32 v104, v96, v104, offset:128        // permute edge values
s_waitcnt 0                                        // wait for swizzle operation
v_mov_b32 v36, v101                                // 
v_mov_b32 v37, v102                                // 
	;; [unrolled: 1-line block ×4, first 2 shown]
v_mov_b32 v101, v53                                // glvw 7 mb 5 tt1 1 r 0
v_mov_b32 v102, v54                                // glvw 7 mb 5 tt1 1 r 0
	;; [unrolled: 1-line block ×4, first 2 shown]
ds_bpermute_b32 v104, v96, v104, offset:128        // permute edge values
s_waitcnt 0                                        // wait for swizzle operation
v_mov_b32 v52, v101                                // 
v_mov_b32 v53, v102                                // 
	;; [unrolled: 1-line block ×4, first 2 shown]
s_mov_b64 s[32:33], 0xFFFFFFFFFFFFFFFF             // to restore all threads active
s_or_saveexec_b64 vcc, s[32:33]                    // all threads active
s_branch label_0246                                // done shifting


/******************************************/
/* shift d1 r=7 mb=6 vw0                  */
/******************************************/
label_0235: // r7 mb6 vw0 
s_mov_b32 s32, 10                                  // 
_v_cmpx_eq_u32 s[32:33], v100, s32                 // is thread in edge glvw region
v_and_b32 v96, 63, v[vgprSerial]                   // permute register between threads
v_lshlrev_b32 v96, 2, v96                          // permute register between threads
v_mov_b32 v101, v41                                // glvw 7 mb 6 tt1 0 r 0
v_mov_b32 v102, v42                                // glvw 7 mb 6 tt1 0 r 0
	;; [unrolled: 1-line block ×4, first 2 shown]
ds_bpermute_b32 v104, v96, v104, offset:128        // permute edge values
s_waitcnt 0                                        // wait for swizzle operation
v_mov_b32 v40, v101                                // 
v_mov_b32 v41, v102                                // 
	;; [unrolled: 1-line block ×4, first 2 shown]
v_mov_b32 v101, v57                                // glvw 7 mb 6 tt1 1 r 0
v_mov_b32 v102, v58                                // glvw 7 mb 6 tt1 1 r 0
	;; [unrolled: 1-line block ×4, first 2 shown]
ds_bpermute_b32 v104, v96, v104, offset:128        // permute edge values
s_waitcnt 0                                        // wait for swizzle operation
v_mov_b32 v56, v101                                // 
v_mov_b32 v57, v102                                // 
	;; [unrolled: 1-line block ×4, first 2 shown]
s_mov_b64 s[32:33], 0xFFFFFFFFFFFFFFFF             // to restore all threads active
s_or_saveexec_b64 vcc, s[32:33]                    // all threads active
s_branch label_0246                                // done shifting


/******************************************/
/* shift d1 r=7 mb=7 vw0                  */
/******************************************/
label_0237: // r7 mb7 vw0 
s_mov_b32 s32, 11                                  // 
_v_cmpx_eq_u32 s[32:33], v100, s32                 // is thread in edge glvw region
v_and_b32 v96, 63, v[vgprSerial]                   // permute register between threads
v_lshlrev_b32 v96, 2, v96                          // permute register between threads
v_mov_b32 v101, v45                                // glvw 7 mb 7 tt1 0 r 0
v_mov_b32 v102, v46                                // glvw 7 mb 7 tt1 0 r 0
	;; [unrolled: 1-line block ×4, first 2 shown]
ds_bpermute_b32 v104, v96, v104, offset:128        // permute edge values
s_waitcnt 0                                        // wait for swizzle operation
v_mov_b32 v44, v101                                // 
v_mov_b32 v45, v102                                // 
	;; [unrolled: 1-line block ×4, first 2 shown]
v_mov_b32 v101, v61                                // glvw 7 mb 7 tt1 1 r 0
v_mov_b32 v102, v62                                // glvw 7 mb 7 tt1 1 r 0
v_mov_b32 v103, v63                                // glvw 7 mb 7 tt1 1 r 0
v_mov_b32 v104, v60                                // glvw 7 mb 7 tt1 1 r 0
ds_bpermute_b32 v104, v96, v104, offset:128        // permute edge values
s_waitcnt 0                                        // wait for swizzle operation
v_mov_b32 v60, v101                                // 
v_mov_b32 v61, v102                                // 
	;; [unrolled: 1-line block ×4, first 2 shown]
s_mov_b64 s[32:33], 0xFFFFFFFFFFFFFFFF             // to restore all threads active
s_or_saveexec_b64 vcc, s[32:33]                    // all threads active
s_branch label_0246                                // done shifting


/******************************************/
/* shift d1 r=7 mb=8 vw0                  */
/******************************************/
label_0239: // r7 mb8 vw0 
s_mov_b32 s32, 16                                  // 
_v_cmpx_eq_u32 s[32:33], v100, s32                 // is thread in edge glvw region
v_and_b32 v96, 63, v[vgprSerial]                   // permute register between threads
v_lshlrev_b32 v96, 2, v96                          // permute register between threads
v_mov_b32 v101, v65                                // glvw 7 mb 8 tt1 0 r 0
v_mov_b32 v102, v66                                // glvw 7 mb 8 tt1 0 r 0
	;; [unrolled: 1-line block ×4, first 2 shown]
ds_bpermute_b32 v104, v96, v104, offset:128        // permute edge values
s_waitcnt 0                                        // wait for swizzle operation
v_mov_b32 v64, v101                                // 
v_mov_b32 v65, v102                                // 
	;; [unrolled: 1-line block ×4, first 2 shown]
v_mov_b32 v101, v81                                // glvw 7 mb 8 tt1 1 r 0
v_mov_b32 v102, v82                                // glvw 7 mb 8 tt1 1 r 0
v_mov_b32 v103, v83                                // glvw 7 mb 8 tt1 1 r 0
v_mov_b32 v104, v80                                // glvw 7 mb 8 tt1 1 r 0
ds_bpermute_b32 v104, v96, v104, offset:128        // permute edge values
s_waitcnt 0                                        // wait for swizzle operation
v_mov_b32 v80, v101                                // 
v_mov_b32 v81, v102                                // 
	;; [unrolled: 1-line block ×4, first 2 shown]
s_mov_b64 s[32:33], 0xFFFFFFFFFFFFFFFF             // to restore all threads active
s_or_saveexec_b64 vcc, s[32:33]                    // all threads active
s_branch label_0246                                // done shifting


/******************************************/
/* shift d1 r=7 mb=9 vw0                  */
/******************************************/
label_0241: // r7 mb9 vw0 
s_mov_b32 s32, 17                                  // 
_v_cmpx_eq_u32 s[32:33], v100, s32                 // is thread in edge glvw region
v_and_b32 v96, 63, v[vgprSerial]                   // permute register between threads
v_lshlrev_b32 v96, 2, v96                          // permute register between threads
v_mov_b32 v101, v69                                // glvw 7 mb 9 tt1 0 r 0
v_mov_b32 v102, v70                                // glvw 7 mb 9 tt1 0 r 0
	;; [unrolled: 1-line block ×4, first 2 shown]
ds_bpermute_b32 v104, v96, v104, offset:128        // permute edge values
s_waitcnt 0                                        // wait for swizzle operation
v_mov_b32 v68, v101                                // 
v_mov_b32 v69, v102                                // 
	;; [unrolled: 1-line block ×4, first 2 shown]
v_mov_b32 v101, v85                                // glvw 7 mb 9 tt1 1 r 0
v_mov_b32 v102, v86                                // glvw 7 mb 9 tt1 1 r 0
	;; [unrolled: 1-line block ×4, first 2 shown]
ds_bpermute_b32 v104, v96, v104, offset:128        // permute edge values
s_waitcnt 0                                        // wait for swizzle operation
v_mov_b32 v84, v101                                // 
v_mov_b32 v85, v102                                // 
	;; [unrolled: 1-line block ×4, first 2 shown]
s_mov_b64 s[32:33], 0xFFFFFFFFFFFFFFFF             // to restore all threads active
s_or_saveexec_b64 vcc, s[32:33]                    // all threads active
s_branch label_0246                                // done shifting


/******************************************/
/* shift d1 r=7 mb=10 vw0                 */
/******************************************/
label_0243: // r7 mb10 vw0 
s_mov_b32 s32, 18                                  // 
_v_cmpx_eq_u32 s[32:33], v100, s32                 // is thread in edge glvw region
v_and_b32 v96, 63, v[vgprSerial]                   // permute register between threads
v_lshlrev_b32 v96, 2, v96                          // permute register between threads
v_mov_b32 v101, v73                                // glvw 7 mb 10 tt1 0 r 0
v_mov_b32 v102, v74                                // glvw 7 mb 10 tt1 0 r 0
	;; [unrolled: 1-line block ×4, first 2 shown]
ds_bpermute_b32 v104, v96, v104, offset:128        // permute edge values
s_waitcnt 0                                        // wait for swizzle operation
v_mov_b32 v72, v101                                // 
v_mov_b32 v73, v102                                // 
	;; [unrolled: 1-line block ×4, first 2 shown]
v_mov_b32 v101, v89                                // glvw 7 mb 10 tt1 1 r 0
v_mov_b32 v102, v90                                // glvw 7 mb 10 tt1 1 r 0
	;; [unrolled: 1-line block ×4, first 2 shown]
ds_bpermute_b32 v104, v96, v104, offset:128        // permute edge values
s_waitcnt 0                                        // wait for swizzle operation
v_mov_b32 v88, v101                                // 
v_mov_b32 v89, v102                                // 
	;; [unrolled: 1-line block ×4, first 2 shown]
s_mov_b64 s[32:33], 0xFFFFFFFFFFFFFFFF             // to restore all threads active
s_or_saveexec_b64 vcc, s[32:33]                    // all threads active
s_branch label_0246                                // done shifting


/******************************************/
/* shift d1 r=7 mb=11 vw0                 */
/******************************************/
label_0245: // r7 mb11 vw0 
s_mov_b32 s32, 19                                  // 
_v_cmpx_eq_u32 s[32:33], v100, s32                 // is thread in edge glvw region
v_and_b32 v96, 63, v[vgprSerial]                   // permute register between threads
v_lshlrev_b32 v96, 2, v96                          // permute register between threads
v_mov_b32 v101, v77                                // glvw 7 mb 11 tt1 0 r 0
v_mov_b32 v102, v78                                // glvw 7 mb 11 tt1 0 r 0
	;; [unrolled: 1-line block ×4, first 2 shown]
ds_bpermute_b32 v104, v96, v104, offset:128        // permute edge values
s_waitcnt 0                                        // wait for swizzle operation
v_mov_b32 v76, v101                                // 
v_mov_b32 v77, v102                                // 
	;; [unrolled: 1-line block ×4, first 2 shown]
v_mov_b32 v101, v93                                // glvw 7 mb 11 tt1 1 r 0
v_mov_b32 v102, v94                                // glvw 7 mb 11 tt1 1 r 0
	;; [unrolled: 1-line block ×4, first 2 shown]
ds_bpermute_b32 v104, v96, v104, offset:128        // permute edge values
s_waitcnt 0                                        // wait for swizzle operation
v_mov_b32 v92, v101                                // 
v_mov_b32 v93, v102                                // 
v_mov_b32 v94, v103                                // 
v_mov_b32 v95, v104                                // 
s_mov_b64 s[32:33], 0xFFFFFFFFFFFFFFFF             // to restore all threads active
s_or_saveexec_b64 vcc, s[32:33]                    // all threads active
s_branch label_0246                                // done shifting

label_0246: // end shift0


	;; [unrolled: 1-line block ×3, first 2 shown]
/* not-LocalSplitU: global write indices */

/* computeStoreVgprs */
v_lshrrev_b32 v100, 6, v[vgprSerial]               // v100 = v[vgprSerial] / 64
v_and_b32 v97, 63, v[vgprSerial]                   // v97 = v[vgprSerial] % 64
v_lshrrev_b32 v97, 5, v97                          // v97 = v97 / 32
v_lshlrev_b32 v97, 0x2, v97                        // thread0 * continuous_output
v_lshrrev_b32 v101, 1, v100                        // v101 = v100 / 2
v_mul_lo_u32 v101, 0x20, v101                      // wave coordination offset 1
_v_add_lshl_u32 v97, v101, v97, 0                  // coordination 1 = vwb *(wave_id1 + tid1)
v_mul_lo_u32 v98, v97, s[sgprStrideC1J]            //  offset 1
v_mul_lo_u32 v99, v97, s[sgprStrideD1J]            //  offset 1
v_and_b32 v101, 1, v100                            // v101 = v100 % 2
v_mul_lo_u32 v101, 0x20, v101                      // wave coordination offset 0
v_and_b32 v96, 31, v[vgprSerial]                   // v96 = v[vgprSerial] % 32
_v_add_lshl_u32 v96, v101, v96, 0                  // coordination 0 = vwa *(wave_id0 + tid0)
s_mul_i32 s31, 128, s[sgprWorkGroup0]              // wgp0 * MT0
_v_add_u32 v96, s31, v96                           // coord 0 = (tid0/MI_m)*4 + waveG0*MIB_m + MT0*SG0
s_mul_i32 s31, 192, s[sgprWorkGroup1]              // wgp1 * MT1
_v_add_u32 v97, s31, v97                           // coord 1 = (tid0%MI_m) + waveG1*MIB_n + MT1*SG1


/* not-LocalSplitU: global write */

s_cmpk_eq_u32 s[sgprBeta], 0x0                     // Beta == 0
s_cbranch_scc0 GW_Beta_285                         // Branch if Beta is not zero

s_and_b32 s32, 127, s[sgprSizeI]                   // s32 = s[sgprSizeI] % 128
s_add_u32 s33, -0x1, s[sgprNumWorkGroups0]         // 
s_cmp_ge_u32 s[sgprWorkGroup0], s33                // wg0 >= nwg0-1 ?
s_cselect_b32 s32, s32, 0                          // set rMT0
s_cmpk_gt_u32 s32, 0x0                             // rMT0 > 0
s_cbranch_scc1 GW_B0_E1_276                        // jump if edges required
s_mov_b32 s35, 0x0                                 // STATIC_DIV: divisior=192
s_mul_i32 s34, 0x2aa, s[sgprSizeJ]                 // tmp1 = dividend * magic hi
s_lshl_b64 s[34:35], s[34:35], 0x10                // left shift 16 bits
s_mul_i32 s33, s[sgprSizeJ], 0xaaab                // tmp0 = dividend * magic lo
s_add_u32 s34, s33, s34                            // add lo
s_addc_u32 s35, s35, 0x0                           // add hi
s_lshr_b64 s[34:35], s[34:35], 0x21                // tmp1 = (dividend * magic) << shift
s_mov_b32 s33, s34                                 // quotient
s_mul_i32 s34, s33, 0xc0                           // quotient*divisor
s_sub_u32 s32, s[sgprSizeJ], s34                   // rReg = dividend - quotient*divisor
s_add_u32 s33, -0x1, s[sgprNumWorkGroups1]         // 
s_cmp_ge_u32 s[sgprWorkGroup1], s33                // wg1 >= nwg1-1
s_cselect_b32 s32, s32, 0                          // set rMT1
s_cmpk_gt_u32 s32, 0x0                             // rMT1 > 0
s_cbranch_scc1 GW_B0_E1_276                        // jump if edges required
GW_B0_E0_273:

/* edge=0, allocate 2 sgpr. perBatchTmpS=2 perBatchMaskS=0 perElementMaskS=0 elementsPerBatch=146 */
/* optSingleColVgpr=1 optSharedColVgpr=0 optSGPRUsage=BufferLoad_Mask optSrdIncForRow=1 */

/******************************************/
/* Global Write Alpha Batch #0 (d1,d0,vc1,vc0) = */
/*    (0,0,0,0:vw1); (0,1,0,0:vw1); (0,0,1,0:vw1); (0,1,1,0:vw1); (0,0,2,0:vw1); (0,1,2,0:vw1); (0,0,3,0:vw1); (0,1,3,0:vw1); (1,0,0,0:vw1); (1,1,0,0:vw1); (1,0,1,0:vw1); (1,1,1,0:vw1); (1,0,2,0:vw1); (1,1,2,0:vw1); (1,0,3,0:vw1); (1,1,3,0:vw1); (2,0,0,0:vw1); (2,1,0,0:vw1); (2,0,1,0:vw1); (2,1,1,0:vw1); (2,0,2,0:vw1); (2,1,2,0:vw1); (2,0,3,0:vw1); (2,1,3,0:vw1); (3,0,0,0:vw1); (3,1,0,0:vw1); (3,0,1,0:vw1); (3,1,1,0:vw1); (3,0,2,0:vw1); (3,1,2,0:vw1); (3,0,3,0:vw1); (3,1,3,0:vw1); (4,0,0,0:vw1); (4,1,0,0:vw1); (4,0,1,0:vw1); (4,1,1,0:vw1); (4,0,2,0:vw1); (4,1,2,0:vw1); (4,0,3,0:vw1); (4,1,3,0:vw1); (5,0,0,0:vw1); (5,1,0,0:vw1); (5,0,1,0:vw1); (5,1,1,0:vw1); (5,0,2,0:vw1); (5,1,2,0:vw1); (5,0,3,0:vw1); (5,1,3,0:vw1); (6,0,0,0:vw1); (6,1,0,0:vw1); (6,0,1,0:vw1); (6,1,1,0:vw1); (6,0,2,0:vw1); (6,1,2,0:vw1); (6,0,3,0:vw1); (6,1,3,0:vw1); (7,0,0,0:vw1); (7,1,0,0:vw1); (7,0,1,0:vw1); (7,1,1,0:vw1); (7,0,2,0:vw1); (7,1,2,0:vw1); (7,0,3,0:vw1); (7,1,3,0:vw1); (8,0,0,0:vw1); (8,1,0,0:vw1); (8,0,1,0:vw1); (8,1,1,0:vw1); (8,0,2,0:vw1); (8,1,2,0:vw1); (8,0,3,0:vw1); (8,1,3,0:vw1); (9,0,0,0:vw1); (9,1,0,0:vw1); (9,0,1,0:vw1); (9,1,1,0:vw1); (9,0,2,0:vw1); (9,1,2,0:vw1); (9,0,3,0:vw1); (9,1,3,0:vw1); (10,0,0,0:vw1); (10,1,0,0:vw1); (10,0,1,0:vw1); (10,1,1,0:vw1); (10,0,2,0:vw1); (10,1,2,0:vw1); (10,0,3,0:vw1); (10,1,3,0:vw1); (11,0,0,0:vw1); (11,1,0,0:vw1); (11,0,1,0:vw1); (11,1,1,0:vw1); (11,0,2,0:vw1); (11,1,2,0:vw1); (11,0,3,0:vw1); (11,1,3,0:vw1) */
/******************************************/

/* calc coords, apply mask, and issue loads (if necessary) */
/* (d1,vc1,d0,vc0)=(0,0,0,0) */
/* (d1,vc1,d0,vc0)=(0,0,1,0) */
	;; [unrolled: 1-line block ×96, first 2 shown]
_v_add_lshl_u32 v102, v99, v96, 0x1                // optSingleColVgpr scaleToBpe: sharedAddrVgpr <- cinRowPtr + coord0, scaled by BPE. BSHERE:coord0=96, coord0Vgpr=96

/* rC *= alpha batchElements=[(0, 0, 0, 0), (0, 1, 0, 0), (0, 0, 1, 0), (0, 1, 1, 0), (0, 0, 2, 0), (0, 1, 2, 0), (0, 0, 3, 0), (0, 1, 3, 0), (1, 0, 0, 0), (1, 1, 0, 0), (1, 0, 1, 0), (1, 1, 1, 0), (1, 0, 2, 0), (1, 1, 2, 0), (1, 0, 3, 0), (1, 1, 3, 0), (2, 0, 0, 0), (2, 1, 0, 0), (2, 0, 1, 0), (2, 1, 1, 0), (2, 0, 2, 0), (2, 1, 2, 0), (2, 0, 3, 0), (2, 1, 3, 0), (3, 0, 0, 0), (3, 1, 0, 0), (3, 0, 1, 0), (3, 1, 1, 0), (3, 0, 2, 0), (3, 1, 2, 0), (3, 0, 3, 0), (3, 1, 3, 0), (4, 0, 0, 0), (4, 1, 0, 0), (4, 0, 1, 0), (4, 1, 1, 0), (4, 0, 2, 0), (4, 1, 2, 0), (4, 0, 3, 0), (4, 1, 3, 0), (5, 0, 0, 0), (5, 1, 0, 0), (5, 0, 1, 0), (5, 1, 1, 0), (5, 0, 2, 0), (5, 1, 2, 0), (5, 0, 3, 0), (5, 1, 3, 0), (6, 0, 0, 0), (6, 1, 0, 0), (6, 0, 1, 0), (6, 1, 1, 0), (6, 0, 2, 0), (6, 1, 2, 0), (6, 0, 3, 0), (6, 1, 3, 0), (7, 0, 0, 0), (7, 1, 0, 0), (7, 0, 1, 0), (7, 1, 1, 0), (7, 0, 2, 0), (7, 1, 2, 0), (7, 0, 3, 0), (7, 1, 3, 0), (8, 0, 0, 0), (8, 1, 0, 0), (8, 0, 1, 0), (8, 1, 1, 0), (8, 0, 2, 0), (8, 1, 2, 0), (8, 0, 3, 0), (8, 1, 3, 0), (9, 0, 0, 0), (9, 1, 0, 0), (9, 0, 1, 0), (9, 1, 1, 0), (9, 0, 2, 0), (9, 1, 2, 0), (9, 0, 3, 0), (9, 1, 3, 0), (10, 0, 0, 0), (10, 1, 0, 0), (10, 0, 1, 0), (10, 1, 1, 0), (10, 0, 2, 0), (10, 1, 2, 0), (10, 0, 3, 0), (10, 1, 3, 0), (11, 0, 0, 0), (11, 1, 0, 0), (11, 0, 1, 0), (11, 1, 1, 0), (11, 0, 2, 0), (11, 1, 2, 0), (11, 0, 3, 0), (11, 1, 3, 0)] */
v_mul_f32 v[vgprValuC+104], s[sgprAlpha], v[vgprValuC+0] // Multiply MI out reg with alpha
v_mul_f32 v[vgprValuC+105], s[sgprAlpha], v[vgprValuC+16] // Multiply MI out reg with alpha
	;; [unrolled: 1-line block ×96, first 2 shown]

/* apply mask, calc new C and issue writes */
v_cvt_f16_f32 v[vgprValuC+104], v[vgprValuC+104]   // convert C to fp16
_buffer_store_b16 v104, v102, s[sgprSrdD:sgprSrdD+3], 0, offen, offset:0,  glc slc // store D
v_cvt_f16_f32 v[vgprValuC+105], v[vgprValuC+105]   // convert C to fp16
_buffer_store_b16 v105, v102, s[sgprSrdD:sgprSrdD+3], 0, offen, offset:128,  glc slc // store D
v_cvt_f16_f32 v[vgprValuC+106], v[vgprValuC+106]   // convert C to fp16
s_lshl_b32  s32, s[sgprStrideD1J], 1               // incToNextRow: Scale by BPE
s_add_u32  s[sgprSrdD+0], s[sgprSrdD+0], s32       // incToNextRow: gra SRD += inc(lower)
s_addc_u32  s[sgprSrdD+1], s[sgprSrdD+1], 0        // incToNextRow: gra SRD += inc(upper)
_buffer_store_b16 v106, v102, s[sgprSrdD:sgprSrdD+3], 0, offen, offset:0,  glc slc // store D
v_cvt_f16_f32 v[vgprValuC+107], v[vgprValuC+107]   // convert C to fp16
_buffer_store_b16 v107, v102, s[sgprSrdD:sgprSrdD+3], 0, offen, offset:128,  glc slc // store D
v_cvt_f16_f32 v[vgprValuC+108], v[vgprValuC+108]   // convert C to fp16
s_lshl_b32  s32, s[sgprStrideD1J], 1               // incToNextRow: Scale by BPE
s_add_u32  s[sgprSrdD+0], s[sgprSrdD+0], s32       // incToNextRow: gra SRD += inc(lower)
s_addc_u32  s[sgprSrdD+1], s[sgprSrdD+1], 0        // incToNextRow: gra SRD += inc(upper)
_buffer_store_b16 v108, v102, s[sgprSrdD:sgprSrdD+3], 0, offen, offset:0,  glc slc // store D
v_cvt_f16_f32 v[vgprValuC+109], v[vgprValuC+109]   // convert C to fp16
_buffer_store_b16 v109, v102, s[sgprSrdD:sgprSrdD+3], 0, offen, offset:128,  glc slc // store D
v_cvt_f16_f32 v[vgprValuC+110], v[vgprValuC+110]   // convert C to fp16
s_lshl_b32  s32, s[sgprStrideD1J], 1               // incToNextRow: Scale by BPE
s_add_u32  s[sgprSrdD+0], s[sgprSrdD+0], s32       // incToNextRow: gra SRD += inc(lower)
s_addc_u32  s[sgprSrdD+1], s[sgprSrdD+1], 0        // incToNextRow: gra SRD += inc(upper)
_buffer_store_b16 v110, v102, s[sgprSrdD:sgprSrdD+3], 0, offen, offset:0,  glc slc // store D
v_cvt_f16_f32 v[vgprValuC+111], v[vgprValuC+111]   // convert C to fp16
_buffer_store_b16 v111, v102, s[sgprSrdD:sgprSrdD+3], 0, offen, offset:128,  glc slc // store D
v_cvt_f16_f32 v[vgprValuC+112], v[vgprValuC+112]   // convert C to fp16
s_mul_i32 s32, s[sgprStrideD1J], 10                // scale StrideD *= numRows(5) * bpe
s_add_u32  s[sgprSrdD+0], s[sgprSrdD+0], s32       // incToNextRow: gra SRD += inc(lower)
s_addc_u32  s[sgprSrdD+1], s[sgprSrdD+1], 0        // incToNextRow: gra SRD += inc(upper)
_buffer_store_b16 v112, v102, s[sgprSrdD:sgprSrdD+3], 0, offen, offset:0,  glc slc // store D
v_cvt_f16_f32 v[vgprValuC+113], v[vgprValuC+113]   // convert C to fp16
_buffer_store_b16 v113, v102, s[sgprSrdD:sgprSrdD+3], 0, offen, offset:128,  glc slc // store D
v_cvt_f16_f32 v[vgprValuC+114], v[vgprValuC+114]   // convert C to fp16
s_lshl_b32  s32, s[sgprStrideD1J], 1               // incToNextRow: Scale by BPE
s_add_u32  s[sgprSrdD+0], s[sgprSrdD+0], s32       // incToNextRow: gra SRD += inc(lower)
s_addc_u32  s[sgprSrdD+1], s[sgprSrdD+1], 0        // incToNextRow: gra SRD += inc(upper)
_buffer_store_b16 v114, v102, s[sgprSrdD:sgprSrdD+3], 0, offen, offset:0,  glc slc // store D
v_cvt_f16_f32 v[vgprValuC+115], v[vgprValuC+115]   // convert C to fp16
_buffer_store_b16 v115, v102, s[sgprSrdD:sgprSrdD+3], 0, offen, offset:128,  glc slc // store D
v_cvt_f16_f32 v[vgprValuC+116], v[vgprValuC+116]   // convert C to fp16
s_lshl_b32  s32, s[sgprStrideD1J], 1               // incToNextRow: Scale by BPE
s_add_u32  s[sgprSrdD+0], s[sgprSrdD+0], s32       // incToNextRow: gra SRD += inc(lower)
s_addc_u32  s[sgprSrdD+1], s[sgprSrdD+1], 0        // incToNextRow: gra SRD += inc(upper)
_buffer_store_b16 v116, v102, s[sgprSrdD:sgprSrdD+3], 0, offen, offset:0,  glc slc // store D
v_cvt_f16_f32 v[vgprValuC+117], v[vgprValuC+117]   // convert C to fp16
_buffer_store_b16 v117, v102, s[sgprSrdD:sgprSrdD+3], 0, offen, offset:128,  glc slc // store D
v_cvt_f16_f32 v[vgprValuC+118], v[vgprValuC+118]   // convert C to fp16
s_lshl_b32  s32, s[sgprStrideD1J], 1               // incToNextRow: Scale by BPE
s_add_u32  s[sgprSrdD+0], s[sgprSrdD+0], s32       // incToNextRow: gra SRD += inc(lower)
s_addc_u32  s[sgprSrdD+1], s[sgprSrdD+1], 0        // incToNextRow: gra SRD += inc(upper)
_buffer_store_b16 v118, v102, s[sgprSrdD:sgprSrdD+3], 0, offen, offset:0,  glc slc // store D
v_cvt_f16_f32 v[vgprValuC+119], v[vgprValuC+119]   // convert C to fp16
_buffer_store_b16 v119, v102, s[sgprSrdD:sgprSrdD+3], 0, offen, offset:128,  glc slc // store D
v_cvt_f16_f32 v[vgprValuC+120], v[vgprValuC+120]   // convert C to fp16
s_mul_i32 s32, s[sgprStrideD1J], 10                // scale StrideD *= numRows(5) * bpe
s_add_u32  s[sgprSrdD+0], s[sgprSrdD+0], s32       // incToNextRow: gra SRD += inc(lower)
s_addc_u32  s[sgprSrdD+1], s[sgprSrdD+1], 0        // incToNextRow: gra SRD += inc(upper)
	;; [unrolled: 28-line block ×11, first 2 shown]
_buffer_store_b16 v197, v102, s[sgprSrdD:sgprSrdD+3], 0, offen, offset:0,  glc slc // store D
v_cvt_f16_f32 v[vgprValuC+198], v[vgprValuC+198]   // convert C to fp16
_buffer_store_b16 v198, v102, s[sgprSrdD:sgprSrdD+3], 0, offen, offset:128,  glc slc // store D
v_cvt_f16_f32 v[vgprValuC+199], v[vgprValuC+199]   // convert C to fp16
s_lshl_b32  s32, s[sgprStrideD1J], 1               // incToNextRow: Scale by BPE
s_add_u32  s[sgprSrdD+0], s[sgprSrdD+0], s32       // incToNextRow: gra SRD += inc(lower)
s_addc_u32  s[sgprSrdD+1], s[sgprSrdD+1], 0        // incToNextRow: gra SRD += inc(upper)
_buffer_store_b16 v199, v102, s[sgprSrdD:sgprSrdD+3], 0, offen, offset:0,  glc slc // store D
v_cvt_f16_f32 v[vgprValuC+200], v[vgprValuC+200]   // convert C to fp16
_buffer_store_b16 v200, v102, s[sgprSrdD:sgprSrdD+3], 0, offen, offset:128,  glc slc // store D
v_cvt_f16_f32 v[vgprValuC+201], v[vgprValuC+201]   // convert C to fp16
s_lshl_b32  s32, s[sgprStrideD1J], 1               // incToNextRow: Scale by BPE
s_add_u32  s[sgprSrdD+0], s[sgprSrdD+0], s32       // incToNextRow: gra SRD += inc(lower)
s_addc_u32  s[sgprSrdD+1], s[sgprSrdD+1], 0        // incToNextRow: gra SRD += inc(upper)
_buffer_store_b16 v201, v102, s[sgprSrdD:sgprSrdD+3], 0, offen, offset:0,  glc slc // store D
v_cvt_f16_f32 v[vgprValuC+202], v[vgprValuC+202]   // convert C to fp16
_buffer_store_b16 v202, v102, s[sgprSrdD:sgprSrdD+3], 0, offen, offset:128,  glc slc // store D
v_cvt_f16_f32 v[vgprValuC+203], v[vgprValuC+203]   // convert C to fp16
s_lshl_b32  s32, s[sgprStrideD1J], 1               // incToNextRow: Scale by BPE
s_add_u32  s[sgprSrdD+0], s[sgprSrdD+0], s32       // incToNextRow: gra SRD += inc(lower)
s_addc_u32  s[sgprSrdD+1], s[sgprSrdD+1], 0        // incToNextRow: gra SRD += inc(upper)
_buffer_store_b16 v203, v102, s[sgprSrdD:sgprSrdD+3], 0, offen, offset:0,  glc slc // store D
v_cvt_f16_f32 v[vgprValuC+204], v[vgprValuC+204]   // convert C to fp16
_buffer_store_b16 v204, v102, s[sgprSrdD:sgprSrdD+3], 0, offen, offset:128,  glc slc // store D
s_nop 0                                            // 1 wait state required when next inst writes vgprs held by previous dwordx4 store inst
s_branch label_GW_End_284                          // jump to end
GW_B0_E1_276:

/* edge=1, allocate 6 sgpr. perBatchTmpS=4 perBatchMaskS=2 perElementMaskS=0 elementsPerBatch=74 */
/* optSingleColVgpr=0 optSharedColVgpr=0 optSGPRUsage=BufferLoad_Edge_Mask optSrdIncForRow=0 */

/******************************************/
/* Global Write Alpha Edge Batch #0 (d1,d0,vc1,vc0) = */
/*    (0,0,0,0:vw1); (0,1,0,0:vw1); (0,0,1,0:vw1); (0,1,1,0:vw1); (0,0,2,0:vw1); (0,1,2,0:vw1); (0,0,3,0:vw1); (0,1,3,0:vw1); (1,0,0,0:vw1); (1,1,0,0:vw1); (1,0,1,0:vw1); (1,1,1,0:vw1); (1,0,2,0:vw1); (1,1,2,0:vw1); (1,0,3,0:vw1); (1,1,3,0:vw1); (2,0,0,0:vw1); (2,1,0,0:vw1); (2,0,1,0:vw1); (2,1,1,0:vw1); (2,0,2,0:vw1); (2,1,2,0:vw1); (2,0,3,0:vw1); (2,1,3,0:vw1); (3,0,0,0:vw1); (3,1,0,0:vw1); (3,0,1,0:vw1); (3,1,1,0:vw1); (3,0,2,0:vw1); (3,1,2,0:vw1); (3,0,3,0:vw1); (3,1,3,0:vw1); (4,0,0,0:vw1); (4,1,0,0:vw1); (4,0,1,0:vw1); (4,1,1,0:vw1); (4,0,2,0:vw1); (4,1,2,0:vw1); (4,0,3,0:vw1); (4,1,3,0:vw1); (5,0,0,0:vw1); (5,1,0,0:vw1); (5,0,1,0:vw1); (5,1,1,0:vw1); (5,0,2,0:vw1); (5,1,2,0:vw1); (5,0,3,0:vw1); (5,1,3,0:vw1); (6,0,0,0:vw1); (6,1,0,0:vw1); (6,0,1,0:vw1); (6,1,1,0:vw1); (6,0,2,0:vw1); (6,1,2,0:vw1); (6,0,3,0:vw1); (6,1,3,0:vw1); (7,0,0,0:vw1); (7,1,0,0:vw1); (7,0,1,0:vw1); (7,1,1,0:vw1); (7,0,2,0:vw1); (7,1,2,0:vw1); (7,0,3,0:vw1); (7,1,3,0:vw1); (8,0,0,0:vw1); (8,1,0,0:vw1); (8,0,1,0:vw1); (8,1,1,0:vw1); (8,0,2,0:vw1); (8,1,2,0:vw1); (8,0,3,0:vw1); (8,1,3,0:vw1); (9,0,0,0:vw1); (9,1,0,0:vw1) */
/******************************************/

/* calc coords, apply mask, and issue loads (if necessary) */
/* (d1,vc1,d0,vc0)=(0,0,0,0) */
v_cmp_lt_u32 s[52:53], v96, s[sgprSizeI]           // coord0 < size0
v_cmp_lt_u32 s[56:57], v97, s[sgprSizeJ]           // coord1 < size1
s_and_b64 s[56:57], s[52:53], s[56:57]             // in0 && in1
_v_add_lshl_u32 v102, v99, v96, 0x1                // scaleToBpe: accumulate d0 lower and *= bpe into Cin addr
v_cndmask_b32 v102, -1, v102, s[56:57]             // LDD clip if OOB. offset
/* (d1,vc1,d0,vc0)=(0,0,1,0) */
_v_add_co_u32 v100, vcc, v96, 64                   // coord0.1: coord0 += d0*sg0*VW + vc0
v_cmp_lt_u32 s[52:53], v100, s[sgprSizeI]          // coord0 < size0
v_cmp_lt_u32 s[56:57], v97, s[sgprSizeJ]           // coord1 < size1
s_and_b64 s[56:57], s[52:53], s[56:57]             // in0 && in1
_v_add_lshl_u32 v104, v99, v100, 0x1               // scaleToBpe: accumulate d0 lower and *= bpe into Cin addr
v_cndmask_b32 v104, -1, v104, s[56:57]             // LDD clip if OOB. offset
/* (d1,vc1,d0,vc0)=(0,1,0,0) */
_v_add_co_u32 v97, vcc, v97, 1                     // coord1.1: coord1Vgpr += d1*sg1*VW + vc1

/* Fix for UseInitialStridesCD, emitAddressSetupCode */
_v_add_u32 v98, v98, s[sgprStrideC1J]              // ROWINC- Move cinRowPtr to next row
_v_add_u32 v99, v99, s[sgprStrideD1J]              // Move coutRowPtr to next row
v_cmp_lt_u32 s[52:53], v96, s[sgprSizeI]           // coord0 < size0
v_cmp_lt_u32 s[56:57], v97, s[sgprSizeJ]           // coord1 < size1
s_and_b64 s[56:57], s[52:53], s[56:57]             // in0 && in1
_v_add_lshl_u32 v106, v99, v96, 0x1                // scaleToBpe: accumulate d0 lower and *= bpe into Cin addr
v_cndmask_b32 v106, -1, v106, s[56:57]             // LDD clip if OOB. offset
/* (d1,vc1,d0,vc0)=(0,1,1,0) */
_v_add_co_u32 v100, vcc, v96, 64                   // coord0.1: coord0 += d0*sg0*VW + vc0
v_cmp_lt_u32 s[52:53], v100, s[sgprSizeI]          // coord0 < size0
v_cmp_lt_u32 s[56:57], v97, s[sgprSizeJ]           // coord1 < size1
s_and_b64 s[56:57], s[52:53], s[56:57]             // in0 && in1
_v_add_lshl_u32 v108, v99, v100, 0x1               // scaleToBpe: accumulate d0 lower and *= bpe into Cin addr
v_cndmask_b32 v108, -1, v108, s[56:57]             // LDD clip if OOB. offset
/* (d1,vc1,d0,vc0)=(0,2,0,0) */
_v_add_co_u32 v97, vcc, v97, 1                     // coord1.1: coord1Vgpr += d1*sg1*VW + vc1

/* Fix for UseInitialStridesCD, emitAddressSetupCode */
_v_add_u32 v98, v98, s[sgprStrideC1J]              // ROWINC- Move cinRowPtr to next row
_v_add_u32 v99, v99, s[sgprStrideD1J]              // Move coutRowPtr to next row
	;; [unrolled: 18-line block ×3, first 2 shown]
v_cmp_lt_u32 s[52:53], v96, s[sgprSizeI]           // coord0 < size0
v_cmp_lt_u32 s[56:57], v97, s[sgprSizeJ]           // coord1 < size1
s_and_b64 s[56:57], s[52:53], s[56:57]             // in0 && in1
_v_add_lshl_u32 v114, v99, v96, 0x1                // scaleToBpe: accumulate d0 lower and *= bpe into Cin addr
v_cndmask_b32 v114, -1, v114, s[56:57]             // LDD clip if OOB. offset
/* (d1,vc1,d0,vc0)=(0,3,1,0) */
_v_add_co_u32 v100, vcc, v96, 64                   // coord0.1: coord0 += d0*sg0*VW + vc0
v_cmp_lt_u32 s[52:53], v100, s[sgprSizeI]          // coord0 < size0
v_cmp_lt_u32 s[56:57], v97, s[sgprSizeJ]           // coord1 < size1
s_and_b64 s[56:57], s[52:53], s[56:57]             // in0 && in1
_v_add_lshl_u32 v116, v99, v100, 0x1               // scaleToBpe: accumulate d0 lower and *= bpe into Cin addr
v_cndmask_b32 v116, -1, v116, s[56:57]             // LDD clip if OOB. offset
/* (d1,vc1,d0,vc0)=(1,0,0,0) */
_v_add_co_u32 v97, vcc, v97, 5                     // coord1.1: coord1Vgpr += d1*sg1*VW + vc1

/* Fix for UseInitialStridesCD, emitAddressSetupCode */
s_mul_i32 s52, s[sgprStrideC1J], 5                 // scale stride
_v_add_u32 v98, v98, s52                           // ROWINC- Move cinRowPtr to next row
s_mul_i32 s52, s[sgprStrideD1J], 5                 // scale stride
_v_add_u32 v99, v99, s52                           // Move coutRowPtr to next row
v_cmp_lt_u32 s[52:53], v96, s[sgprSizeI]           // coord0 < size0
v_cmp_lt_u32 s[56:57], v97, s[sgprSizeJ]           // coord1 < size1
s_and_b64 s[56:57], s[52:53], s[56:57]             // in0 && in1
_v_add_lshl_u32 v118, v99, v96, 0x1                // scaleToBpe: accumulate d0 lower and *= bpe into Cin addr
v_cndmask_b32 v118, -1, v118, s[56:57]             // LDD clip if OOB. offset
/* (d1,vc1,d0,vc0)=(1,0,1,0) */
_v_add_co_u32 v100, vcc, v96, 64                   // coord0.1: coord0 += d0*sg0*VW + vc0
v_cmp_lt_u32 s[52:53], v100, s[sgprSizeI]          // coord0 < size0
v_cmp_lt_u32 s[56:57], v97, s[sgprSizeJ]           // coord1 < size1
s_and_b64 s[56:57], s[52:53], s[56:57]             // in0 && in1
_v_add_lshl_u32 v120, v99, v100, 0x1               // scaleToBpe: accumulate d0 lower and *= bpe into Cin addr
v_cndmask_b32 v120, -1, v120, s[56:57]             // LDD clip if OOB. offset
/* (d1,vc1,d0,vc0)=(1,1,0,0) */
_v_add_co_u32 v97, vcc, v97, 1                     // coord1.1: coord1Vgpr += d1*sg1*VW + vc1

/* Fix for UseInitialStridesCD, emitAddressSetupCode */
_v_add_u32 v98, v98, s[sgprStrideC1J]              // ROWINC- Move cinRowPtr to next row
_v_add_u32 v99, v99, s[sgprStrideD1J]              // Move coutRowPtr to next row
v_cmp_lt_u32 s[52:53], v96, s[sgprSizeI]           // coord0 < size0
v_cmp_lt_u32 s[56:57], v97, s[sgprSizeJ]           // coord1 < size1
s_and_b64 s[56:57], s[52:53], s[56:57]             // in0 && in1
_v_add_lshl_u32 v122, v99, v96, 0x1                // scaleToBpe: accumulate d0 lower and *= bpe into Cin addr
v_cndmask_b32 v122, -1, v122, s[56:57]             // LDD clip if OOB. offset
/* (d1,vc1,d0,vc0)=(1,1,1,0) */
_v_add_co_u32 v100, vcc, v96, 64                   // coord0.1: coord0 += d0*sg0*VW + vc0
v_cmp_lt_u32 s[52:53], v100, s[sgprSizeI]          // coord0 < size0
v_cmp_lt_u32 s[56:57], v97, s[sgprSizeJ]           // coord1 < size1
s_and_b64 s[56:57], s[52:53], s[56:57]             // in0 && in1
_v_add_lshl_u32 v124, v99, v100, 0x1               // scaleToBpe: accumulate d0 lower and *= bpe into Cin addr
v_cndmask_b32 v124, -1, v124, s[56:57]             // LDD clip if OOB. offset
/* (d1,vc1,d0,vc0)=(1,2,0,0) */
_v_add_co_u32 v97, vcc, v97, 1                     // coord1.1: coord1Vgpr += d1*sg1*VW + vc1

/* Fix for UseInitialStridesCD, emitAddressSetupCode */
_v_add_u32 v98, v98, s[sgprStrideC1J]              // ROWINC- Move cinRowPtr to next row
_v_add_u32 v99, v99, s[sgprStrideD1J]              // Move coutRowPtr to next row
v_cmp_lt_u32 s[52:53], v96, s[sgprSizeI]           // coord0 < size0
v_cmp_lt_u32 s[56:57], v97, s[sgprSizeJ]           // coord1 < size1
s_and_b64 s[56:57], s[52:53], s[56:57]             // in0 && in1
_v_add_lshl_u32 v126, v99, v96, 0x1                // scaleToBpe: accumulate d0 lower and *= bpe into Cin addr
v_cndmask_b32 v126, -1, v126, s[56:57]             // LDD clip if OOB. offset
/* (d1,vc1,d0,vc0)=(1,2,1,0) */
_v_add_co_u32 v100, vcc, v96, 64                   // coord0.1: coord0 += d0*sg0*VW + vc0
v_cmp_lt_u32 s[52:53], v100, s[sgprSizeI]          // coord0 < size0
v_cmp_lt_u32 s[56:57], v97, s[sgprSizeJ]           // coord1 < size1
s_and_b64 s[56:57], s[52:53], s[56:57]             // in0 && in1
_v_add_lshl_u32 v128, v99, v100, 0x1               // scaleToBpe: accumulate d0 lower and *= bpe into Cin addr
v_cndmask_b32 v128, -1, v128, s[56:57]             // LDD clip if OOB. offset
/* (d1,vc1,d0,vc0)=(1,3,0,0) */
_v_add_co_u32 v97, vcc, v97, 1                     // coord1.1: coord1Vgpr += d1*sg1*VW + vc1

/* Fix for UseInitialStridesCD, emitAddressSetupCode */
_v_add_u32 v98, v98, s[sgprStrideC1J]              // ROWINC- Move cinRowPtr to next row
_v_add_u32 v99, v99, s[sgprStrideD1J]              // Move coutRowPtr to next row
v_cmp_lt_u32 s[52:53], v96, s[sgprSizeI]           // coord0 < size0
v_cmp_lt_u32 s[56:57], v97, s[sgprSizeJ]           // coord1 < size1
s_and_b64 s[56:57], s[52:53], s[56:57]             // in0 && in1
_v_add_lshl_u32 v130, v99, v96, 0x1                // scaleToBpe: accumulate d0 lower and *= bpe into Cin addr
v_cndmask_b32 v130, -1, v130, s[56:57]             // LDD clip if OOB. offset
/* (d1,vc1,d0,vc0)=(1,3,1,0) */
_v_add_co_u32 v100, vcc, v96, 64                   // coord0.1: coord0 += d0*sg0*VW + vc0
v_cmp_lt_u32 s[52:53], v100, s[sgprSizeI]          // coord0 < size0
v_cmp_lt_u32 s[56:57], v97, s[sgprSizeJ]           // coord1 < size1
s_and_b64 s[56:57], s[52:53], s[56:57]             // in0 && in1
_v_add_lshl_u32 v132, v99, v100, 0x1               // scaleToBpe: accumulate d0 lower and *= bpe into Cin addr
v_cndmask_b32 v132, -1, v132, s[56:57]             // LDD clip if OOB. offset
/* (d1,vc1,d0,vc0)=(2,0,0,0) */
_v_add_co_u32 v97, vcc, v97, 5                     // coord1.1: coord1Vgpr += d1*sg1*VW + vc1

/* Fix for UseInitialStridesCD, emitAddressSetupCode */
s_mul_i32 s52, s[sgprStrideC1J], 5                 // scale stride
_v_add_u32 v98, v98, s52                           // ROWINC- Move cinRowPtr to next row
s_mul_i32 s52, s[sgprStrideD1J], 5                 // scale stride
_v_add_u32 v99, v99, s52                           // Move coutRowPtr to next row
v_cmp_lt_u32 s[52:53], v96, s[sgprSizeI]           // coord0 < size0
v_cmp_lt_u32 s[56:57], v97, s[sgprSizeJ]           // coord1 < size1
s_and_b64 s[56:57], s[52:53], s[56:57]             // in0 && in1
_v_add_lshl_u32 v134, v99, v96, 0x1                // scaleToBpe: accumulate d0 lower and *= bpe into Cin addr
v_cndmask_b32 v134, -1, v134, s[56:57]             // LDD clip if OOB. offset
/* (d1,vc1,d0,vc0)=(2,0,1,0) */
_v_add_co_u32 v100, vcc, v96, 64                   // coord0.1: coord0 += d0*sg0*VW + vc0
v_cmp_lt_u32 s[52:53], v100, s[sgprSizeI]          // coord0 < size0
v_cmp_lt_u32 s[56:57], v97, s[sgprSizeJ]           // coord1 < size1
s_and_b64 s[56:57], s[52:53], s[56:57]             // in0 && in1
_v_add_lshl_u32 v136, v99, v100, 0x1               // scaleToBpe: accumulate d0 lower and *= bpe into Cin addr
v_cndmask_b32 v136, -1, v136, s[56:57]             // LDD clip if OOB. offset
/* (d1,vc1,d0,vc0)=(2,1,0,0) */
_v_add_co_u32 v97, vcc, v97, 1                     // coord1.1: coord1Vgpr += d1*sg1*VW + vc1

/* Fix for UseInitialStridesCD, emitAddressSetupCode */
_v_add_u32 v98, v98, s[sgprStrideC1J]              // ROWINC- Move cinRowPtr to next row
_v_add_u32 v99, v99, s[sgprStrideD1J]              // Move coutRowPtr to next row
v_cmp_lt_u32 s[52:53], v96, s[sgprSizeI]           // coord0 < size0
v_cmp_lt_u32 s[56:57], v97, s[sgprSizeJ]           // coord1 < size1
s_and_b64 s[56:57], s[52:53], s[56:57]             // in0 && in1
_v_add_lshl_u32 v138, v99, v96, 0x1                // scaleToBpe: accumulate d0 lower and *= bpe into Cin addr
v_cndmask_b32 v138, -1, v138, s[56:57]             // LDD clip if OOB. offset
/* (d1,vc1,d0,vc0)=(2,1,1,0) */
_v_add_co_u32 v100, vcc, v96, 64                   // coord0.1: coord0 += d0*sg0*VW + vc0
v_cmp_lt_u32 s[52:53], v100, s[sgprSizeI]          // coord0 < size0
v_cmp_lt_u32 s[56:57], v97, s[sgprSizeJ]           // coord1 < size1
s_and_b64 s[56:57], s[52:53], s[56:57]             // in0 && in1
_v_add_lshl_u32 v140, v99, v100, 0x1               // scaleToBpe: accumulate d0 lower and *= bpe into Cin addr
v_cndmask_b32 v140, -1, v140, s[56:57]             // LDD clip if OOB. offset
/* (d1,vc1,d0,vc0)=(2,2,0,0) */
_v_add_co_u32 v97, vcc, v97, 1                     // coord1.1: coord1Vgpr += d1*sg1*VW + vc1

/* Fix for UseInitialStridesCD, emitAddressSetupCode */
_v_add_u32 v98, v98, s[sgprStrideC1J]              // ROWINC- Move cinRowPtr to next row
_v_add_u32 v99, v99, s[sgprStrideD1J]              // Move coutRowPtr to next row
	;; [unrolled: 18-line block ×3, first 2 shown]
v_cmp_lt_u32 s[52:53], v96, s[sgprSizeI]           // coord0 < size0
v_cmp_lt_u32 s[56:57], v97, s[sgprSizeJ]           // coord1 < size1
s_and_b64 s[56:57], s[52:53], s[56:57]             // in0 && in1
_v_add_lshl_u32 v151, v99, v96, 0x1                // scaleToBpe: accumulate d0 lower and *= bpe into Cin addr
v_cndmask_b32 v151, -1, v151, s[56:57]             // LDD clip if OOB. offset
/* (d1,vc1,d0,vc0)=(2,3,1,0) */
_v_add_co_u32 v100, vcc, v96, 64                   // coord0.1: coord0 += d0*sg0*VW + vc0
v_cmp_lt_u32 s[52:53], v100, s[sgprSizeI]          // coord0 < size0
v_cmp_lt_u32 s[56:57], v97, s[sgprSizeJ]           // coord1 < size1
s_and_b64 s[56:57], s[52:53], s[56:57]             // in0 && in1
_v_add_lshl_u32 v153, v99, v100, 0x1               // scaleToBpe: accumulate d0 lower and *= bpe into Cin addr
v_cndmask_b32 v153, -1, v153, s[56:57]             // LDD clip if OOB. offset
/* (d1,vc1,d0,vc0)=(3,0,0,0) */
_v_add_co_u32 v97, vcc, v97, 5                     // coord1.1: coord1Vgpr += d1*sg1*VW + vc1

/* Fix for UseInitialStridesCD, emitAddressSetupCode */
s_mul_i32 s52, s[sgprStrideC1J], 5                 // scale stride
_v_add_u32 v98, v98, s52                           // ROWINC- Move cinRowPtr to next row
s_mul_i32 s52, s[sgprStrideD1J], 5                 // scale stride
_v_add_u32 v99, v99, s52                           // Move coutRowPtr to next row
v_cmp_lt_u32 s[52:53], v96, s[sgprSizeI]           // coord0 < size0
v_cmp_lt_u32 s[56:57], v97, s[sgprSizeJ]           // coord1 < size1
s_and_b64 s[56:57], s[52:53], s[56:57]             // in0 && in1
_v_add_lshl_u32 v155, v99, v96, 0x1                // scaleToBpe: accumulate d0 lower and *= bpe into Cin addr
v_cndmask_b32 v155, -1, v155, s[56:57]             // LDD clip if OOB. offset
/* (d1,vc1,d0,vc0)=(3,0,1,0) */
_v_add_co_u32 v100, vcc, v96, 64                   // coord0.1: coord0 += d0*sg0*VW + vc0
v_cmp_lt_u32 s[52:53], v100, s[sgprSizeI]          // coord0 < size0
v_cmp_lt_u32 s[56:57], v97, s[sgprSizeJ]           // coord1 < size1
s_and_b64 s[56:57], s[52:53], s[56:57]             // in0 && in1
_v_add_lshl_u32 v157, v99, v100, 0x1               // scaleToBpe: accumulate d0 lower and *= bpe into Cin addr
v_cndmask_b32 v157, -1, v157, s[56:57]             // LDD clip if OOB. offset
/* (d1,vc1,d0,vc0)=(3,1,0,0) */
_v_add_co_u32 v97, vcc, v97, 1                     // coord1.1: coord1Vgpr += d1*sg1*VW + vc1

/* Fix for UseInitialStridesCD, emitAddressSetupCode */
_v_add_u32 v98, v98, s[sgprStrideC1J]              // ROWINC- Move cinRowPtr to next row
_v_add_u32 v99, v99, s[sgprStrideD1J]              // Move coutRowPtr to next row
v_cmp_lt_u32 s[52:53], v96, s[sgprSizeI]           // coord0 < size0
v_cmp_lt_u32 s[56:57], v97, s[sgprSizeJ]           // coord1 < size1
s_and_b64 s[56:57], s[52:53], s[56:57]             // in0 && in1
_v_add_lshl_u32 v159, v99, v96, 0x1                // scaleToBpe: accumulate d0 lower and *= bpe into Cin addr
v_cndmask_b32 v159, -1, v159, s[56:57]             // LDD clip if OOB. offset
/* (d1,vc1,d0,vc0)=(3,1,1,0) */
_v_add_co_u32 v100, vcc, v96, 64                   // coord0.1: coord0 += d0*sg0*VW + vc0
v_cmp_lt_u32 s[52:53], v100, s[sgprSizeI]          // coord0 < size0
v_cmp_lt_u32 s[56:57], v97, s[sgprSizeJ]           // coord1 < size1
s_and_b64 s[56:57], s[52:53], s[56:57]             // in0 && in1
_v_add_lshl_u32 v161, v99, v100, 0x1               // scaleToBpe: accumulate d0 lower and *= bpe into Cin addr
v_cndmask_b32 v161, -1, v161, s[56:57]             // LDD clip if OOB. offset
/* (d1,vc1,d0,vc0)=(3,2,0,0) */
_v_add_co_u32 v97, vcc, v97, 1                     // coord1.1: coord1Vgpr += d1*sg1*VW + vc1

/* Fix for UseInitialStridesCD, emitAddressSetupCode */
_v_add_u32 v98, v98, s[sgprStrideC1J]              // ROWINC- Move cinRowPtr to next row
_v_add_u32 v99, v99, s[sgprStrideD1J]              // Move coutRowPtr to next row
	;; [unrolled: 18-line block ×3, first 2 shown]
v_cmp_lt_u32 s[52:53], v96, s[sgprSizeI]           // coord0 < size0
v_cmp_lt_u32 s[56:57], v97, s[sgprSizeJ]           // coord1 < size1
s_and_b64 s[56:57], s[52:53], s[56:57]             // in0 && in1
_v_add_lshl_u32 v167, v99, v96, 0x1                // scaleToBpe: accumulate d0 lower and *= bpe into Cin addr
v_cndmask_b32 v167, -1, v167, s[56:57]             // LDD clip if OOB. offset
/* (d1,vc1,d0,vc0)=(3,3,1,0) */
_v_add_co_u32 v100, vcc, v96, 64                   // coord0.1: coord0 += d0*sg0*VW + vc0
v_cmp_lt_u32 s[52:53], v100, s[sgprSizeI]          // coord0 < size0
v_cmp_lt_u32 s[56:57], v97, s[sgprSizeJ]           // coord1 < size1
s_and_b64 s[56:57], s[52:53], s[56:57]             // in0 && in1
_v_add_lshl_u32 v169, v99, v100, 0x1               // scaleToBpe: accumulate d0 lower and *= bpe into Cin addr
v_cndmask_b32 v169, -1, v169, s[56:57]             // LDD clip if OOB. offset
/* (d1,vc1,d0,vc0)=(4,0,0,0) */
_v_add_co_u32 v97, vcc, v97, 37                    // coord1.1: coord1Vgpr += d1*sg1*VW + vc1

/* Fix for UseInitialStridesCD, emitAddressSetupCode */
s_mul_i32 s52, s[sgprStrideC1J], 37                // scale stride
_v_add_u32 v98, v98, s52                           // ROWINC- Move cinRowPtr to next row
s_mul_i32 s52, s[sgprStrideD1J], 37                // scale stride
_v_add_u32 v99, v99, s52                           // Move coutRowPtr to next row
v_cmp_lt_u32 s[52:53], v96, s[sgprSizeI]           // coord0 < size0
v_cmp_lt_u32 s[56:57], v97, s[sgprSizeJ]           // coord1 < size1
s_and_b64 s[56:57], s[52:53], s[56:57]             // in0 && in1
_v_add_lshl_u32 v171, v99, v96, 0x1                // scaleToBpe: accumulate d0 lower and *= bpe into Cin addr
v_cndmask_b32 v171, -1, v171, s[56:57]             // LDD clip if OOB. offset
/* (d1,vc1,d0,vc0)=(4,0,1,0) */
_v_add_co_u32 v100, vcc, v96, 64                   // coord0.1: coord0 += d0*sg0*VW + vc0
v_cmp_lt_u32 s[52:53], v100, s[sgprSizeI]          // coord0 < size0
v_cmp_lt_u32 s[56:57], v97, s[sgprSizeJ]           // coord1 < size1
s_and_b64 s[56:57], s[52:53], s[56:57]             // in0 && in1
_v_add_lshl_u32 v173, v99, v100, 0x1               // scaleToBpe: accumulate d0 lower and *= bpe into Cin addr
v_cndmask_b32 v173, -1, v173, s[56:57]             // LDD clip if OOB. offset
/* (d1,vc1,d0,vc0)=(4,1,0,0) */
_v_add_co_u32 v97, vcc, v97, 1                     // coord1.1: coord1Vgpr += d1*sg1*VW + vc1

/* Fix for UseInitialStridesCD, emitAddressSetupCode */
_v_add_u32 v98, v98, s[sgprStrideC1J]              // ROWINC- Move cinRowPtr to next row
_v_add_u32 v99, v99, s[sgprStrideD1J]              // Move coutRowPtr to next row
v_cmp_lt_u32 s[52:53], v96, s[sgprSizeI]           // coord0 < size0
v_cmp_lt_u32 s[56:57], v97, s[sgprSizeJ]           // coord1 < size1
s_and_b64 s[56:57], s[52:53], s[56:57]             // in0 && in1
_v_add_lshl_u32 v175, v99, v96, 0x1                // scaleToBpe: accumulate d0 lower and *= bpe into Cin addr
v_cndmask_b32 v175, -1, v175, s[56:57]             // LDD clip if OOB. offset
/* (d1,vc1,d0,vc0)=(4,1,1,0) */
_v_add_co_u32 v100, vcc, v96, 64                   // coord0.1: coord0 += d0*sg0*VW + vc0
v_cmp_lt_u32 s[52:53], v100, s[sgprSizeI]          // coord0 < size0
v_cmp_lt_u32 s[56:57], v97, s[sgprSizeJ]           // coord1 < size1
s_and_b64 s[56:57], s[52:53], s[56:57]             // in0 && in1
_v_add_lshl_u32 v177, v99, v100, 0x1               // scaleToBpe: accumulate d0 lower and *= bpe into Cin addr
v_cndmask_b32 v177, -1, v177, s[56:57]             // LDD clip if OOB. offset
/* (d1,vc1,d0,vc0)=(4,2,0,0) */
_v_add_co_u32 v97, vcc, v97, 1                     // coord1.1: coord1Vgpr += d1*sg1*VW + vc1

/* Fix for UseInitialStridesCD, emitAddressSetupCode */
_v_add_u32 v98, v98, s[sgprStrideC1J]              // ROWINC- Move cinRowPtr to next row
_v_add_u32 v99, v99, s[sgprStrideD1J]              // Move coutRowPtr to next row
	;; [unrolled: 18-line block ×3, first 2 shown]
v_cmp_lt_u32 s[52:53], v96, s[sgprSizeI]           // coord0 < size0
v_cmp_lt_u32 s[56:57], v97, s[sgprSizeJ]           // coord1 < size1
s_and_b64 s[56:57], s[52:53], s[56:57]             // in0 && in1
_v_add_lshl_u32 v183, v99, v96, 0x1                // scaleToBpe: accumulate d0 lower and *= bpe into Cin addr
v_cndmask_b32 v183, -1, v183, s[56:57]             // LDD clip if OOB. offset
/* (d1,vc1,d0,vc0)=(4,3,1,0) */
_v_add_co_u32 v100, vcc, v96, 64                   // coord0.1: coord0 += d0*sg0*VW + vc0
v_cmp_lt_u32 s[52:53], v100, s[sgprSizeI]          // coord0 < size0
v_cmp_lt_u32 s[56:57], v97, s[sgprSizeJ]           // coord1 < size1
s_and_b64 s[56:57], s[52:53], s[56:57]             // in0 && in1
_v_add_lshl_u32 v185, v99, v100, 0x1               // scaleToBpe: accumulate d0 lower and *= bpe into Cin addr
v_cndmask_b32 v185, -1, v185, s[56:57]             // LDD clip if OOB. offset
/* (d1,vc1,d0,vc0)=(5,0,0,0) */
_v_add_co_u32 v97, vcc, v97, 5                     // coord1.1: coord1Vgpr += d1*sg1*VW + vc1

/* Fix for UseInitialStridesCD, emitAddressSetupCode */
s_mul_i32 s52, s[sgprStrideC1J], 5                 // scale stride
_v_add_u32 v98, v98, s52                           // ROWINC- Move cinRowPtr to next row
s_mul_i32 s52, s[sgprStrideD1J], 5                 // scale stride
_v_add_u32 v99, v99, s52                           // Move coutRowPtr to next row
v_cmp_lt_u32 s[52:53], v96, s[sgprSizeI]           // coord0 < size0
v_cmp_lt_u32 s[56:57], v97, s[sgprSizeJ]           // coord1 < size1
s_and_b64 s[56:57], s[52:53], s[56:57]             // in0 && in1
_v_add_lshl_u32 v187, v99, v96, 0x1                // scaleToBpe: accumulate d0 lower and *= bpe into Cin addr
v_cndmask_b32 v187, -1, v187, s[56:57]             // LDD clip if OOB. offset
/* (d1,vc1,d0,vc0)=(5,0,1,0) */
_v_add_co_u32 v100, vcc, v96, 64                   // coord0.1: coord0 += d0*sg0*VW + vc0
v_cmp_lt_u32 s[52:53], v100, s[sgprSizeI]          // coord0 < size0
v_cmp_lt_u32 s[56:57], v97, s[sgprSizeJ]           // coord1 < size1
s_and_b64 s[56:57], s[52:53], s[56:57]             // in0 && in1
_v_add_lshl_u32 v189, v99, v100, 0x1               // scaleToBpe: accumulate d0 lower and *= bpe into Cin addr
v_cndmask_b32 v189, -1, v189, s[56:57]             // LDD clip if OOB. offset
/* (d1,vc1,d0,vc0)=(5,1,0,0) */
_v_add_co_u32 v97, vcc, v97, 1                     // coord1.1: coord1Vgpr += d1*sg1*VW + vc1

/* Fix for UseInitialStridesCD, emitAddressSetupCode */
_v_add_u32 v98, v98, s[sgprStrideC1J]              // ROWINC- Move cinRowPtr to next row
_v_add_u32 v99, v99, s[sgprStrideD1J]              // Move coutRowPtr to next row
v_cmp_lt_u32 s[52:53], v96, s[sgprSizeI]           // coord0 < size0
v_cmp_lt_u32 s[56:57], v97, s[sgprSizeJ]           // coord1 < size1
s_and_b64 s[56:57], s[52:53], s[56:57]             // in0 && in1
_v_add_lshl_u32 v191, v99, v96, 0x1                // scaleToBpe: accumulate d0 lower and *= bpe into Cin addr
v_cndmask_b32 v191, -1, v191, s[56:57]             // LDD clip if OOB. offset
/* (d1,vc1,d0,vc0)=(5,1,1,0) */
_v_add_co_u32 v100, vcc, v96, 64                   // coord0.1: coord0 += d0*sg0*VW + vc0
v_cmp_lt_u32 s[52:53], v100, s[sgprSizeI]          // coord0 < size0
v_cmp_lt_u32 s[56:57], v97, s[sgprSizeJ]           // coord1 < size1
s_and_b64 s[56:57], s[52:53], s[56:57]             // in0 && in1
_v_add_lshl_u32 v193, v99, v100, 0x1               // scaleToBpe: accumulate d0 lower and *= bpe into Cin addr
v_cndmask_b32 v193, -1, v193, s[56:57]             // LDD clip if OOB. offset
/* (d1,vc1,d0,vc0)=(5,2,0,0) */
_v_add_co_u32 v97, vcc, v97, 1                     // coord1.1: coord1Vgpr += d1*sg1*VW + vc1

/* Fix for UseInitialStridesCD, emitAddressSetupCode */
_v_add_u32 v98, v98, s[sgprStrideC1J]              // ROWINC- Move cinRowPtr to next row
_v_add_u32 v99, v99, s[sgprStrideD1J]              // Move coutRowPtr to next row
	;; [unrolled: 18-line block ×3, first 2 shown]
v_cmp_lt_u32 s[52:53], v96, s[sgprSizeI]           // coord0 < size0
v_cmp_lt_u32 s[56:57], v97, s[sgprSizeJ]           // coord1 < size1
s_and_b64 s[56:57], s[52:53], s[56:57]             // in0 && in1
_v_add_lshl_u32 v199, v99, v96, 0x1                // scaleToBpe: accumulate d0 lower and *= bpe into Cin addr
v_cndmask_b32 v199, -1, v199, s[56:57]             // LDD clip if OOB. offset
/* (d1,vc1,d0,vc0)=(5,3,1,0) */
_v_add_co_u32 v100, vcc, v96, 64                   // coord0.1: coord0 += d0*sg0*VW + vc0
v_cmp_lt_u32 s[52:53], v100, s[sgprSizeI]          // coord0 < size0
v_cmp_lt_u32 s[56:57], v97, s[sgprSizeJ]           // coord1 < size1
s_and_b64 s[56:57], s[52:53], s[56:57]             // in0 && in1
_v_add_lshl_u32 v201, v99, v100, 0x1               // scaleToBpe: accumulate d0 lower and *= bpe into Cin addr
v_cndmask_b32 v201, -1, v201, s[56:57]             // LDD clip if OOB. offset
/* (d1,vc1,d0,vc0)=(6,0,0,0) */
_v_add_co_u32 v97, vcc, v97, 5                     // coord1.1: coord1Vgpr += d1*sg1*VW + vc1

/* Fix for UseInitialStridesCD, emitAddressSetupCode */
s_mul_i32 s52, s[sgprStrideC1J], 5                 // scale stride
_v_add_u32 v98, v98, s52                           // ROWINC- Move cinRowPtr to next row
s_mul_i32 s52, s[sgprStrideD1J], 5                 // scale stride
_v_add_u32 v99, v99, s52                           // Move coutRowPtr to next row
v_cmp_lt_u32 s[52:53], v96, s[sgprSizeI]           // coord0 < size0
v_cmp_lt_u32 s[56:57], v97, s[sgprSizeJ]           // coord1 < size1
s_and_b64 s[56:57], s[52:53], s[56:57]             // in0 && in1
_v_add_lshl_u32 v203, v99, v96, 0x1                // scaleToBpe: accumulate d0 lower and *= bpe into Cin addr
v_cndmask_b32 v203, -1, v203, s[56:57]             // LDD clip if OOB. offset
/* (d1,vc1,d0,vc0)=(6,0,1,0) */
_v_add_co_u32 v100, vcc, v96, 64                   // coord0.1: coord0 += d0*sg0*VW + vc0
v_cmp_lt_u32 s[52:53], v100, s[sgprSizeI]          // coord0 < size0
v_cmp_lt_u32 s[56:57], v97, s[sgprSizeJ]           // coord1 < size1
s_and_b64 s[56:57], s[52:53], s[56:57]             // in0 && in1
_v_add_lshl_u32 v205, v99, v100, 0x1               // scaleToBpe: accumulate d0 lower and *= bpe into Cin addr
v_cndmask_b32 v205, -1, v205, s[56:57]             // LDD clip if OOB. offset
/* (d1,vc1,d0,vc0)=(6,1,0,0) */
_v_add_co_u32 v97, vcc, v97, 1                     // coord1.1: coord1Vgpr += d1*sg1*VW + vc1

/* Fix for UseInitialStridesCD, emitAddressSetupCode */
_v_add_u32 v98, v98, s[sgprStrideC1J]              // ROWINC- Move cinRowPtr to next row
_v_add_u32 v99, v99, s[sgprStrideD1J]              // Move coutRowPtr to next row
v_cmp_lt_u32 s[52:53], v96, s[sgprSizeI]           // coord0 < size0
v_cmp_lt_u32 s[56:57], v97, s[sgprSizeJ]           // coord1 < size1
s_and_b64 s[56:57], s[52:53], s[56:57]             // in0 && in1
_v_add_lshl_u32 v207, v99, v96, 0x1                // scaleToBpe: accumulate d0 lower and *= bpe into Cin addr
v_cndmask_b32 v207, -1, v207, s[56:57]             // LDD clip if OOB. offset
/* (d1,vc1,d0,vc0)=(6,1,1,0) */
_v_add_co_u32 v100, vcc, v96, 64                   // coord0.1: coord0 += d0*sg0*VW + vc0
v_cmp_lt_u32 s[52:53], v100, s[sgprSizeI]          // coord0 < size0
v_cmp_lt_u32 s[56:57], v97, s[sgprSizeJ]           // coord1 < size1
s_and_b64 s[56:57], s[52:53], s[56:57]             // in0 && in1
_v_add_lshl_u32 v209, v99, v100, 0x1               // scaleToBpe: accumulate d0 lower and *= bpe into Cin addr
v_cndmask_b32 v209, -1, v209, s[56:57]             // LDD clip if OOB. offset
/* (d1,vc1,d0,vc0)=(6,2,0,0) */
_v_add_co_u32 v97, vcc, v97, 1                     // coord1.1: coord1Vgpr += d1*sg1*VW + vc1

/* Fix for UseInitialStridesCD, emitAddressSetupCode */
_v_add_u32 v98, v98, s[sgprStrideC1J]              // ROWINC- Move cinRowPtr to next row
_v_add_u32 v99, v99, s[sgprStrideD1J]              // Move coutRowPtr to next row
	;; [unrolled: 18-line block ×3, first 2 shown]
v_cmp_lt_u32 s[52:53], v96, s[sgprSizeI]           // coord0 < size0
v_cmp_lt_u32 s[56:57], v97, s[sgprSizeJ]           // coord1 < size1
s_and_b64 s[56:57], s[52:53], s[56:57]             // in0 && in1
_v_add_lshl_u32 v215, v99, v96, 0x1                // scaleToBpe: accumulate d0 lower and *= bpe into Cin addr
v_cndmask_b32 v215, -1, v215, s[56:57]             // LDD clip if OOB. offset
/* (d1,vc1,d0,vc0)=(6,3,1,0) */
_v_add_co_u32 v100, vcc, v96, 64                   // coord0.1: coord0 += d0*sg0*VW + vc0
v_cmp_lt_u32 s[52:53], v100, s[sgprSizeI]          // coord0 < size0
v_cmp_lt_u32 s[56:57], v97, s[sgprSizeJ]           // coord1 < size1
s_and_b64 s[56:57], s[52:53], s[56:57]             // in0 && in1
_v_add_lshl_u32 v217, v99, v100, 0x1               // scaleToBpe: accumulate d0 lower and *= bpe into Cin addr
v_cndmask_b32 v217, -1, v217, s[56:57]             // LDD clip if OOB. offset
/* (d1,vc1,d0,vc0)=(7,0,0,0) */
_v_add_co_u32 v97, vcc, v97, 5                     // coord1.1: coord1Vgpr += d1*sg1*VW + vc1

/* Fix for UseInitialStridesCD, emitAddressSetupCode */
s_mul_i32 s52, s[sgprStrideC1J], 5                 // scale stride
_v_add_u32 v98, v98, s52                           // ROWINC- Move cinRowPtr to next row
s_mul_i32 s52, s[sgprStrideD1J], 5                 // scale stride
_v_add_u32 v99, v99, s52                           // Move coutRowPtr to next row
v_cmp_lt_u32 s[52:53], v96, s[sgprSizeI]           // coord0 < size0
v_cmp_lt_u32 s[56:57], v97, s[sgprSizeJ]           // coord1 < size1
s_and_b64 s[56:57], s[52:53], s[56:57]             // in0 && in1
_v_add_lshl_u32 v219, v99, v96, 0x1                // scaleToBpe: accumulate d0 lower and *= bpe into Cin addr
v_cndmask_b32 v219, -1, v219, s[56:57]             // LDD clip if OOB. offset
/* (d1,vc1,d0,vc0)=(7,0,1,0) */
_v_add_co_u32 v100, vcc, v96, 64                   // coord0.1: coord0 += d0*sg0*VW + vc0
v_cmp_lt_u32 s[52:53], v100, s[sgprSizeI]          // coord0 < size0
v_cmp_lt_u32 s[56:57], v97, s[sgprSizeJ]           // coord1 < size1
s_and_b64 s[56:57], s[52:53], s[56:57]             // in0 && in1
_v_add_lshl_u32 v221, v99, v100, 0x1               // scaleToBpe: accumulate d0 lower and *= bpe into Cin addr
v_cndmask_b32 v221, -1, v221, s[56:57]             // LDD clip if OOB. offset
/* (d1,vc1,d0,vc0)=(7,1,0,0) */
_v_add_co_u32 v97, vcc, v97, 1                     // coord1.1: coord1Vgpr += d1*sg1*VW + vc1

/* Fix for UseInitialStridesCD, emitAddressSetupCode */
_v_add_u32 v98, v98, s[sgprStrideC1J]              // ROWINC- Move cinRowPtr to next row
_v_add_u32 v99, v99, s[sgprStrideD1J]              // Move coutRowPtr to next row
v_cmp_lt_u32 s[52:53], v96, s[sgprSizeI]           // coord0 < size0
v_cmp_lt_u32 s[56:57], v97, s[sgprSizeJ]           // coord1 < size1
s_and_b64 s[56:57], s[52:53], s[56:57]             // in0 && in1
_v_add_lshl_u32 v223, v99, v96, 0x1                // scaleToBpe: accumulate d0 lower and *= bpe into Cin addr
v_cndmask_b32 v223, -1, v223, s[56:57]             // LDD clip if OOB. offset
/* (d1,vc1,d0,vc0)=(7,1,1,0) */
_v_add_co_u32 v100, vcc, v96, 64                   // coord0.1: coord0 += d0*sg0*VW + vc0
v_cmp_lt_u32 s[52:53], v100, s[sgprSizeI]          // coord0 < size0
v_cmp_lt_u32 s[56:57], v97, s[sgprSizeJ]           // coord1 < size1
s_and_b64 s[56:57], s[52:53], s[56:57]             // in0 && in1
_v_add_lshl_u32 v225, v99, v100, 0x1               // scaleToBpe: accumulate d0 lower and *= bpe into Cin addr
v_cndmask_b32 v225, -1, v225, s[56:57]             // LDD clip if OOB. offset
/* (d1,vc1,d0,vc0)=(7,2,0,0) */
_v_add_co_u32 v97, vcc, v97, 1                     // coord1.1: coord1Vgpr += d1*sg1*VW + vc1

/* Fix for UseInitialStridesCD, emitAddressSetupCode */
_v_add_u32 v98, v98, s[sgprStrideC1J]              // ROWINC- Move cinRowPtr to next row
_v_add_u32 v99, v99, s[sgprStrideD1J]              // Move coutRowPtr to next row
	;; [unrolled: 18-line block ×3, first 2 shown]
v_cmp_lt_u32 s[52:53], v96, s[sgprSizeI]           // coord0 < size0
v_cmp_lt_u32 s[56:57], v97, s[sgprSizeJ]           // coord1 < size1
s_and_b64 s[56:57], s[52:53], s[56:57]             // in0 && in1
_v_add_lshl_u32 v231, v99, v96, 0x1                // scaleToBpe: accumulate d0 lower and *= bpe into Cin addr
v_cndmask_b32 v231, -1, v231, s[56:57]             // LDD clip if OOB. offset
/* (d1,vc1,d0,vc0)=(7,3,1,0) */
_v_add_co_u32 v100, vcc, v96, 64                   // coord0.1: coord0 += d0*sg0*VW + vc0
v_cmp_lt_u32 s[52:53], v100, s[sgprSizeI]          // coord0 < size0
v_cmp_lt_u32 s[56:57], v97, s[sgprSizeJ]           // coord1 < size1
s_and_b64 s[56:57], s[52:53], s[56:57]             // in0 && in1
_v_add_lshl_u32 v233, v99, v100, 0x1               // scaleToBpe: accumulate d0 lower and *= bpe into Cin addr
v_cndmask_b32 v233, -1, v233, s[56:57]             // LDD clip if OOB. offset
/* (d1,vc1,d0,vc0)=(8,0,0,0) */
_v_add_co_u32 v97, vcc, v97, 37                    // coord1.1: coord1Vgpr += d1*sg1*VW + vc1

/* Fix for UseInitialStridesCD, emitAddressSetupCode */
s_mul_i32 s52, s[sgprStrideC1J], 37                // scale stride
_v_add_u32 v98, v98, s52                           // ROWINC- Move cinRowPtr to next row
s_mul_i32 s52, s[sgprStrideD1J], 37                // scale stride
_v_add_u32 v99, v99, s52                           // Move coutRowPtr to next row
v_cmp_lt_u32 s[52:53], v96, s[sgprSizeI]           // coord0 < size0
v_cmp_lt_u32 s[56:57], v97, s[sgprSizeJ]           // coord1 < size1
s_and_b64 s[56:57], s[52:53], s[56:57]             // in0 && in1
_v_add_lshl_u32 v235, v99, v96, 0x1                // scaleToBpe: accumulate d0 lower and *= bpe into Cin addr
v_cndmask_b32 v235, -1, v235, s[56:57]             // LDD clip if OOB. offset
/* (d1,vc1,d0,vc0)=(8,0,1,0) */
_v_add_co_u32 v100, vcc, v96, 64                   // coord0.1: coord0 += d0*sg0*VW + vc0
v_cmp_lt_u32 s[52:53], v100, s[sgprSizeI]          // coord0 < size0
v_cmp_lt_u32 s[56:57], v97, s[sgprSizeJ]           // coord1 < size1
s_and_b64 s[56:57], s[52:53], s[56:57]             // in0 && in1
_v_add_lshl_u32 v237, v99, v100, 0x1               // scaleToBpe: accumulate d0 lower and *= bpe into Cin addr
v_cndmask_b32 v237, -1, v237, s[56:57]             // LDD clip if OOB. offset
/* (d1,vc1,d0,vc0)=(8,1,0,0) */
_v_add_co_u32 v97, vcc, v97, 1                     // coord1.1: coord1Vgpr += d1*sg1*VW + vc1

/* Fix for UseInitialStridesCD, emitAddressSetupCode */
_v_add_u32 v98, v98, s[sgprStrideC1J]              // ROWINC- Move cinRowPtr to next row
_v_add_u32 v99, v99, s[sgprStrideD1J]              // Move coutRowPtr to next row
v_cmp_lt_u32 s[52:53], v96, s[sgprSizeI]           // coord0 < size0
v_cmp_lt_u32 s[56:57], v97, s[sgprSizeJ]           // coord1 < size1
s_and_b64 s[56:57], s[52:53], s[56:57]             // in0 && in1
_v_add_lshl_u32 v239, v99, v96, 0x1                // scaleToBpe: accumulate d0 lower and *= bpe into Cin addr
v_cndmask_b32 v239, -1, v239, s[56:57]             // LDD clip if OOB. offset
/* (d1,vc1,d0,vc0)=(8,1,1,0) */
_v_add_co_u32 v100, vcc, v96, 64                   // coord0.1: coord0 += d0*sg0*VW + vc0
v_cmp_lt_u32 s[52:53], v100, s[sgprSizeI]          // coord0 < size0
v_cmp_lt_u32 s[56:57], v97, s[sgprSizeJ]           // coord1 < size1
s_and_b64 s[56:57], s[52:53], s[56:57]             // in0 && in1
_v_add_lshl_u32 v241, v99, v100, 0x1               // scaleToBpe: accumulate d0 lower and *= bpe into Cin addr
v_cndmask_b32 v241, -1, v241, s[56:57]             // LDD clip if OOB. offset
/* (d1,vc1,d0,vc0)=(8,2,0,0) */
_v_add_co_u32 v97, vcc, v97, 1                     // coord1.1: coord1Vgpr += d1*sg1*VW + vc1

/* Fix for UseInitialStridesCD, emitAddressSetupCode */
_v_add_u32 v98, v98, s[sgprStrideC1J]              // ROWINC- Move cinRowPtr to next row
_v_add_u32 v99, v99, s[sgprStrideD1J]              // Move coutRowPtr to next row
	;; [unrolled: 18-line block ×3, first 2 shown]
v_cmp_lt_u32 s[52:53], v96, s[sgprSizeI]           // coord0 < size0
v_cmp_lt_u32 s[56:57], v97, s[sgprSizeJ]           // coord1 < size1
s_and_b64 s[56:57], s[52:53], s[56:57]             // in0 && in1
_v_add_lshl_u32 v247, v99, v96, 0x1                // scaleToBpe: accumulate d0 lower and *= bpe into Cin addr
v_cndmask_b32 v247, -1, v247, s[56:57]             // LDD clip if OOB. offset
/* (d1,vc1,d0,vc0)=(8,3,1,0) */
_v_add_co_u32 v100, vcc, v96, 64                   // coord0.1: coord0 += d0*sg0*VW + vc0
v_cmp_lt_u32 s[52:53], v100, s[sgprSizeI]          // coord0 < size0
v_cmp_lt_u32 s[56:57], v97, s[sgprSizeJ]           // coord1 < size1
s_and_b64 s[56:57], s[52:53], s[56:57]             // in0 && in1
_v_add_lshl_u32 v249, v99, v100, 0x1               // scaleToBpe: accumulate d0 lower and *= bpe into Cin addr
v_cndmask_b32 v249, -1, v249, s[56:57]             // LDD clip if OOB. offset
/* (d1,vc1,d0,vc0)=(9,0,0,0) */
_v_add_co_u32 v97, vcc, v97, 5                     // coord1.1: coord1Vgpr += d1*sg1*VW + vc1

/* Fix for UseInitialStridesCD, emitAddressSetupCode */
s_mul_i32 s52, s[sgprStrideC1J], 5                 // scale stride
_v_add_u32 v98, v98, s52                           // ROWINC- Move cinRowPtr to next row
s_mul_i32 s52, s[sgprStrideD1J], 5                 // scale stride
_v_add_u32 v99, v99, s52                           // Move coutRowPtr to next row
v_cmp_lt_u32 s[52:53], v96, s[sgprSizeI]           // coord0 < size0
v_cmp_lt_u32 s[56:57], v97, s[sgprSizeJ]           // coord1 < size1
s_and_b64 s[56:57], s[52:53], s[56:57]             // in0 && in1
_v_add_lshl_u32 v251, v99, v96, 0x1                // scaleToBpe: accumulate d0 lower and *= bpe into Cin addr
v_cndmask_b32 v251, -1, v251, s[56:57]             // LDD clip if OOB. offset
/* (d1,vc1,d0,vc0)=(9,0,1,0) */
_v_add_co_u32 v100, vcc, v96, 64                   // coord0.1: coord0 += d0*sg0*VW + vc0
v_cmp_lt_u32 s[52:53], v100, s[sgprSizeI]          // coord0 < size0
v_cmp_lt_u32 s[56:57], v97, s[sgprSizeJ]           // coord1 < size1
s_and_b64 s[56:57], s[52:53], s[56:57]             // in0 && in1
_v_add_lshl_u32 v253, v99, v100, 0x1               // scaleToBpe: accumulate d0 lower and *= bpe into Cin addr
v_cndmask_b32 v253, -1, v253, s[56:57]             // LDD clip if OOB. offset

/* rC *= alpha batchElements=[(0, 0, 0, 0), (0, 1, 0, 0), (0, 0, 1, 0), (0, 1, 1, 0), (0, 0, 2, 0), (0, 1, 2, 0), (0, 0, 3, 0), (0, 1, 3, 0), (1, 0, 0, 0), (1, 1, 0, 0), (1, 0, 1, 0), (1, 1, 1, 0), (1, 0, 2, 0), (1, 1, 2, 0), (1, 0, 3, 0), (1, 1, 3, 0), (2, 0, 0, 0), (2, 1, 0, 0), (2, 0, 1, 0), (2, 1, 1, 0), (2, 0, 2, 0), (2, 1, 2, 0), (2, 0, 3, 0), (2, 1, 3, 0), (3, 0, 0, 0), (3, 1, 0, 0), (3, 0, 1, 0), (3, 1, 1, 0), (3, 0, 2, 0), (3, 1, 2, 0), (3, 0, 3, 0), (3, 1, 3, 0), (4, 0, 0, 0), (4, 1, 0, 0), (4, 0, 1, 0), (4, 1, 1, 0), (4, 0, 2, 0), (4, 1, 2, 0), (4, 0, 3, 0), (4, 1, 3, 0), (5, 0, 0, 0), (5, 1, 0, 0), (5, 0, 1, 0), (5, 1, 1, 0), (5, 0, 2, 0), (5, 1, 2, 0), (5, 0, 3, 0), (5, 1, 3, 0), (6, 0, 0, 0), (6, 1, 0, 0), (6, 0, 1, 0), (6, 1, 1, 0), (6, 0, 2, 0), (6, 1, 2, 0), (6, 0, 3, 0), (6, 1, 3, 0), (7, 0, 0, 0), (7, 1, 0, 0), (7, 0, 1, 0), (7, 1, 1, 0), (7, 0, 2, 0), (7, 1, 2, 0), (7, 0, 3, 0), (7, 1, 3, 0), (8, 0, 0, 0), (8, 1, 0, 0), (8, 0, 1, 0), (8, 1, 1, 0), (8, 0, 2, 0), (8, 1, 2, 0), (8, 0, 3, 0), (8, 1, 3, 0), (9, 0, 0, 0), (9, 1, 0, 0)] */
v_mul_f32 v[vgprValuC+103], s[sgprAlpha], v[vgprValuC+0] // Multiply MI out reg with alpha
v_mul_f32 v[vgprValuC+105], s[sgprAlpha], v[vgprValuC+16] // Multiply MI out reg with alpha
	;; [unrolled: 1-line block ×74, first 2 shown]

/* apply mask, calc new C and issue writes */
v_cvt_f16_f32 v[vgprValuC+103], v[vgprValuC+103]   // convert C to fp16
_buffer_store_b16 v103, v102, s[sgprSrdD:sgprSrdD+3], 0, offen, offset:0,  glc slc // store D
v_cvt_f16_f32 v[vgprValuC+105], v[vgprValuC+105]   // convert C to fp16
_buffer_store_b16 v105, v104, s[sgprSrdD:sgprSrdD+3], 0, offen, offset:0,  glc slc // store D
v_cvt_f16_f32 v[vgprValuC+107], v[vgprValuC+107]   // convert C to fp16
_buffer_store_b16 v107, v106, s[sgprSrdD:sgprSrdD+3], 0, offen, offset:0,  glc slc // store D
v_cvt_f16_f32 v[vgprValuC+109], v[vgprValuC+109]   // convert C to fp16
_buffer_store_b16 v109, v108, s[sgprSrdD:sgprSrdD+3], 0, offen, offset:0,  glc slc // store D
v_cvt_f16_f32 v[vgprValuC+111], v[vgprValuC+111]   // convert C to fp16
_buffer_store_b16 v111, v110, s[sgprSrdD:sgprSrdD+3], 0, offen, offset:0,  glc slc // store D
v_cvt_f16_f32 v[vgprValuC+113], v[vgprValuC+113]   // convert C to fp16
_buffer_store_b16 v113, v112, s[sgprSrdD:sgprSrdD+3], 0, offen, offset:0,  glc slc // store D
v_cvt_f16_f32 v[vgprValuC+115], v[vgprValuC+115]   // convert C to fp16
_buffer_store_b16 v115, v114, s[sgprSrdD:sgprSrdD+3], 0, offen, offset:0,  glc slc // store D
v_cvt_f16_f32 v[vgprValuC+117], v[vgprValuC+117]   // convert C to fp16
_buffer_store_b16 v117, v116, s[sgprSrdD:sgprSrdD+3], 0, offen, offset:0,  glc slc // store D
v_cvt_f16_f32 v[vgprValuC+119], v[vgprValuC+119]   // convert C to fp16
_buffer_store_b16 v119, v118, s[sgprSrdD:sgprSrdD+3], 0, offen, offset:0,  glc slc // store D
v_cvt_f16_f32 v[vgprValuC+121], v[vgprValuC+121]   // convert C to fp16
_buffer_store_b16 v121, v120, s[sgprSrdD:sgprSrdD+3], 0, offen, offset:0,  glc slc // store D
v_cvt_f16_f32 v[vgprValuC+123], v[vgprValuC+123]   // convert C to fp16
_buffer_store_b16 v123, v122, s[sgprSrdD:sgprSrdD+3], 0, offen, offset:0,  glc slc // store D
v_cvt_f16_f32 v[vgprValuC+125], v[vgprValuC+125]   // convert C to fp16
_buffer_store_b16 v125, v124, s[sgprSrdD:sgprSrdD+3], 0, offen, offset:0,  glc slc // store D
v_cvt_f16_f32 v[vgprValuC+127], v[vgprValuC+127]   // convert C to fp16
_buffer_store_b16 v127, v126, s[sgprSrdD:sgprSrdD+3], 0, offen, offset:0,  glc slc // store D
v_cvt_f16_f32 v[vgprValuC+129], v[vgprValuC+129]   // convert C to fp16
_buffer_store_b16 v129, v128, s[sgprSrdD:sgprSrdD+3], 0, offen, offset:0,  glc slc // store D
v_cvt_f16_f32 v[vgprValuC+131], v[vgprValuC+131]   // convert C to fp16
_buffer_store_b16 v131, v130, s[sgprSrdD:sgprSrdD+3], 0, offen, offset:0,  glc slc // store D
v_cvt_f16_f32 v[vgprValuC+133], v[vgprValuC+133]   // convert C to fp16
_buffer_store_b16 v133, v132, s[sgprSrdD:sgprSrdD+3], 0, offen, offset:0,  glc slc // store D
v_cvt_f16_f32 v[vgprValuC+135], v[vgprValuC+135]   // convert C to fp16
_buffer_store_b16 v135, v134, s[sgprSrdD:sgprSrdD+3], 0, offen, offset:0,  glc slc // store D
v_cvt_f16_f32 v[vgprValuC+137], v[vgprValuC+137]   // convert C to fp16
_buffer_store_b16 v137, v136, s[sgprSrdD:sgprSrdD+3], 0, offen, offset:0,  glc slc // store D
v_cvt_f16_f32 v[vgprValuC+139], v[vgprValuC+139]   // convert C to fp16
_buffer_store_b16 v139, v138, s[sgprSrdD:sgprSrdD+3], 0, offen, offset:0,  glc slc // store D
v_cvt_f16_f32 v[vgprValuC+141], v[vgprValuC+141]   // convert C to fp16
_buffer_store_b16 v141, v140, s[sgprSrdD:sgprSrdD+3], 0, offen, offset:0,  glc slc // store D
v_cvt_f16_f32 v[vgprValuC+143], v[vgprValuC+143]   // convert C to fp16
_buffer_store_b16 v143, v142, s[sgprSrdD:sgprSrdD+3], 0, offen, offset:0,  glc slc // store D
v_cvt_f16_f32 v[vgprValuC+150], v[vgprValuC+150]   // convert C to fp16
_buffer_store_b16 v150, v149, s[sgprSrdD:sgprSrdD+3], 0, offen, offset:0,  glc slc // store D
v_cvt_f16_f32 v[vgprValuC+152], v[vgprValuC+152]   // convert C to fp16
_buffer_store_b16 v152, v151, s[sgprSrdD:sgprSrdD+3], 0, offen, offset:0,  glc slc // store D
v_cvt_f16_f32 v[vgprValuC+154], v[vgprValuC+154]   // convert C to fp16
_buffer_store_b16 v154, v153, s[sgprSrdD:sgprSrdD+3], 0, offen, offset:0,  glc slc // store D
v_cvt_f16_f32 v[vgprValuC+156], v[vgprValuC+156]   // convert C to fp16
_buffer_store_b16 v156, v155, s[sgprSrdD:sgprSrdD+3], 0, offen, offset:0,  glc slc // store D
v_cvt_f16_f32 v[vgprValuC+158], v[vgprValuC+158]   // convert C to fp16
_buffer_store_b16 v158, v157, s[sgprSrdD:sgprSrdD+3], 0, offen, offset:0,  glc slc // store D
v_cvt_f16_f32 v[vgprValuC+160], v[vgprValuC+160]   // convert C to fp16
_buffer_store_b16 v160, v159, s[sgprSrdD:sgprSrdD+3], 0, offen, offset:0,  glc slc // store D
v_cvt_f16_f32 v[vgprValuC+162], v[vgprValuC+162]   // convert C to fp16
_buffer_store_b16 v162, v161, s[sgprSrdD:sgprSrdD+3], 0, offen, offset:0,  glc slc // store D
v_cvt_f16_f32 v[vgprValuC+164], v[vgprValuC+164]   // convert C to fp16
_buffer_store_b16 v164, v163, s[sgprSrdD:sgprSrdD+3], 0, offen, offset:0,  glc slc // store D
v_cvt_f16_f32 v[vgprValuC+166], v[vgprValuC+166]   // convert C to fp16
_buffer_store_b16 v166, v165, s[sgprSrdD:sgprSrdD+3], 0, offen, offset:0,  glc slc // store D
v_cvt_f16_f32 v[vgprValuC+168], v[vgprValuC+168]   // convert C to fp16
_buffer_store_b16 v168, v167, s[sgprSrdD:sgprSrdD+3], 0, offen, offset:0,  glc slc // store D
v_cvt_f16_f32 v[vgprValuC+170], v[vgprValuC+170]   // convert C to fp16
_buffer_store_b16 v170, v169, s[sgprSrdD:sgprSrdD+3], 0, offen, offset:0,  glc slc // store D
v_cvt_f16_f32 v[vgprValuC+172], v[vgprValuC+172]   // convert C to fp16
_buffer_store_b16 v172, v171, s[sgprSrdD:sgprSrdD+3], 0, offen, offset:0,  glc slc // store D
v_cvt_f16_f32 v[vgprValuC+174], v[vgprValuC+174]   // convert C to fp16
_buffer_store_b16 v174, v173, s[sgprSrdD:sgprSrdD+3], 0, offen, offset:0,  glc slc // store D
v_cvt_f16_f32 v[vgprValuC+176], v[vgprValuC+176]   // convert C to fp16
_buffer_store_b16 v176, v175, s[sgprSrdD:sgprSrdD+3], 0, offen, offset:0,  glc slc // store D
v_cvt_f16_f32 v[vgprValuC+178], v[vgprValuC+178]   // convert C to fp16
_buffer_store_b16 v178, v177, s[sgprSrdD:sgprSrdD+3], 0, offen, offset:0,  glc slc // store D
v_cvt_f16_f32 v[vgprValuC+180], v[vgprValuC+180]   // convert C to fp16
_buffer_store_b16 v180, v179, s[sgprSrdD:sgprSrdD+3], 0, offen, offset:0,  glc slc // store D
v_cvt_f16_f32 v[vgprValuC+182], v[vgprValuC+182]   // convert C to fp16
_buffer_store_b16 v182, v181, s[sgprSrdD:sgprSrdD+3], 0, offen, offset:0,  glc slc // store D
v_cvt_f16_f32 v[vgprValuC+184], v[vgprValuC+184]   // convert C to fp16
_buffer_store_b16 v184, v183, s[sgprSrdD:sgprSrdD+3], 0, offen, offset:0,  glc slc // store D
v_cvt_f16_f32 v[vgprValuC+186], v[vgprValuC+186]   // convert C to fp16
_buffer_store_b16 v186, v185, s[sgprSrdD:sgprSrdD+3], 0, offen, offset:0,  glc slc // store D
v_cvt_f16_f32 v[vgprValuC+188], v[vgprValuC+188]   // convert C to fp16
_buffer_store_b16 v188, v187, s[sgprSrdD:sgprSrdD+3], 0, offen, offset:0,  glc slc // store D
v_cvt_f16_f32 v[vgprValuC+190], v[vgprValuC+190]   // convert C to fp16
_buffer_store_b16 v190, v189, s[sgprSrdD:sgprSrdD+3], 0, offen, offset:0,  glc slc // store D
v_cvt_f16_f32 v[vgprValuC+192], v[vgprValuC+192]   // convert C to fp16
_buffer_store_b16 v192, v191, s[sgprSrdD:sgprSrdD+3], 0, offen, offset:0,  glc slc // store D
v_cvt_f16_f32 v[vgprValuC+194], v[vgprValuC+194]   // convert C to fp16
_buffer_store_b16 v194, v193, s[sgprSrdD:sgprSrdD+3], 0, offen, offset:0,  glc slc // store D
v_cvt_f16_f32 v[vgprValuC+196], v[vgprValuC+196]   // convert C to fp16
_buffer_store_b16 v196, v195, s[sgprSrdD:sgprSrdD+3], 0, offen, offset:0,  glc slc // store D
v_cvt_f16_f32 v[vgprValuC+198], v[vgprValuC+198]   // convert C to fp16
_buffer_store_b16 v198, v197, s[sgprSrdD:sgprSrdD+3], 0, offen, offset:0,  glc slc // store D
v_cvt_f16_f32 v[vgprValuC+200], v[vgprValuC+200]   // convert C to fp16
_buffer_store_b16 v200, v199, s[sgprSrdD:sgprSrdD+3], 0, offen, offset:0,  glc slc // store D
v_cvt_f16_f32 v[vgprValuC+202], v[vgprValuC+202]   // convert C to fp16
_buffer_store_b16 v202, v201, s[sgprSrdD:sgprSrdD+3], 0, offen, offset:0,  glc slc // store D
v_cvt_f16_f32 v[vgprValuC+204], v[vgprValuC+204]   // convert C to fp16
_buffer_store_b16 v204, v203, s[sgprSrdD:sgprSrdD+3], 0, offen, offset:0,  glc slc // store D
v_cvt_f16_f32 v[vgprValuC+206], v[vgprValuC+206]   // convert C to fp16
_buffer_store_b16 v206, v205, s[sgprSrdD:sgprSrdD+3], 0, offen, offset:0,  glc slc // store D
v_cvt_f16_f32 v[vgprValuC+208], v[vgprValuC+208]   // convert C to fp16
_buffer_store_b16 v208, v207, s[sgprSrdD:sgprSrdD+3], 0, offen, offset:0,  glc slc // store D
v_cvt_f16_f32 v[vgprValuC+210], v[vgprValuC+210]   // convert C to fp16
_buffer_store_b16 v210, v209, s[sgprSrdD:sgprSrdD+3], 0, offen, offset:0,  glc slc // store D
v_cvt_f16_f32 v[vgprValuC+212], v[vgprValuC+212]   // convert C to fp16
_buffer_store_b16 v212, v211, s[sgprSrdD:sgprSrdD+3], 0, offen, offset:0,  glc slc // store D
v_cvt_f16_f32 v[vgprValuC+214], v[vgprValuC+214]   // convert C to fp16
_buffer_store_b16 v214, v213, s[sgprSrdD:sgprSrdD+3], 0, offen, offset:0,  glc slc // store D
v_cvt_f16_f32 v[vgprValuC+216], v[vgprValuC+216]   // convert C to fp16
_buffer_store_b16 v216, v215, s[sgprSrdD:sgprSrdD+3], 0, offen, offset:0,  glc slc // store D
v_cvt_f16_f32 v[vgprValuC+218], v[vgprValuC+218]   // convert C to fp16
_buffer_store_b16 v218, v217, s[sgprSrdD:sgprSrdD+3], 0, offen, offset:0,  glc slc // store D
v_cvt_f16_f32 v[vgprValuC+220], v[vgprValuC+220]   // convert C to fp16
_buffer_store_b16 v220, v219, s[sgprSrdD:sgprSrdD+3], 0, offen, offset:0,  glc slc // store D
v_cvt_f16_f32 v[vgprValuC+222], v[vgprValuC+222]   // convert C to fp16
_buffer_store_b16 v222, v221, s[sgprSrdD:sgprSrdD+3], 0, offen, offset:0,  glc slc // store D
v_cvt_f16_f32 v[vgprValuC+224], v[vgprValuC+224]   // convert C to fp16
_buffer_store_b16 v224, v223, s[sgprSrdD:sgprSrdD+3], 0, offen, offset:0,  glc slc // store D
v_cvt_f16_f32 v[vgprValuC+226], v[vgprValuC+226]   // convert C to fp16
_buffer_store_b16 v226, v225, s[sgprSrdD:sgprSrdD+3], 0, offen, offset:0,  glc slc // store D
v_cvt_f16_f32 v[vgprValuC+228], v[vgprValuC+228]   // convert C to fp16
_buffer_store_b16 v228, v227, s[sgprSrdD:sgprSrdD+3], 0, offen, offset:0,  glc slc // store D
v_cvt_f16_f32 v[vgprValuC+230], v[vgprValuC+230]   // convert C to fp16
_buffer_store_b16 v230, v229, s[sgprSrdD:sgprSrdD+3], 0, offen, offset:0,  glc slc // store D
v_cvt_f16_f32 v[vgprValuC+232], v[vgprValuC+232]   // convert C to fp16
_buffer_store_b16 v232, v231, s[sgprSrdD:sgprSrdD+3], 0, offen, offset:0,  glc slc // store D
v_cvt_f16_f32 v[vgprValuC+234], v[vgprValuC+234]   // convert C to fp16
_buffer_store_b16 v234, v233, s[sgprSrdD:sgprSrdD+3], 0, offen, offset:0,  glc slc // store D
v_cvt_f16_f32 v[vgprValuC+236], v[vgprValuC+236]   // convert C to fp16
_buffer_store_b16 v236, v235, s[sgprSrdD:sgprSrdD+3], 0, offen, offset:0,  glc slc // store D
v_cvt_f16_f32 v[vgprValuC+238], v[vgprValuC+238]   // convert C to fp16
_buffer_store_b16 v238, v237, s[sgprSrdD:sgprSrdD+3], 0, offen, offset:0,  glc slc // store D
v_cvt_f16_f32 v[vgprValuC+240], v[vgprValuC+240]   // convert C to fp16
_buffer_store_b16 v240, v239, s[sgprSrdD:sgprSrdD+3], 0, offen, offset:0,  glc slc // store D
v_cvt_f16_f32 v[vgprValuC+242], v[vgprValuC+242]   // convert C to fp16
_buffer_store_b16 v242, v241, s[sgprSrdD:sgprSrdD+3], 0, offen, offset:0,  glc slc // store D
v_cvt_f16_f32 v[vgprValuC+244], v[vgprValuC+244]   // convert C to fp16
_buffer_store_b16 v244, v243, s[sgprSrdD:sgprSrdD+3], 0, offen, offset:0,  glc slc // store D
v_cvt_f16_f32 v[vgprValuC+246], v[vgprValuC+246]   // convert C to fp16
_buffer_store_b16 v246, v245, s[sgprSrdD:sgprSrdD+3], 0, offen, offset:0,  glc slc // store D
v_cvt_f16_f32 v[vgprValuC+248], v[vgprValuC+248]   // convert C to fp16
_buffer_store_b16 v248, v247, s[sgprSrdD:sgprSrdD+3], 0, offen, offset:0,  glc slc // store D
v_cvt_f16_f32 v[vgprValuC+250], v[vgprValuC+250]   // convert C to fp16
_buffer_store_b16 v250, v249, s[sgprSrdD:sgprSrdD+3], 0, offen, offset:0,  glc slc // store D
v_cvt_f16_f32 v[vgprValuC+252], v[vgprValuC+252]   // convert C to fp16
_buffer_store_b16 v252, v251, s[sgprSrdD:sgprSrdD+3], 0, offen, offset:0,  glc slc // store D
v_cvt_f16_f32 v[vgprValuC+254], v[vgprValuC+254]   // convert C to fp16
_buffer_store_b16 v254, v253, s[sgprSrdD:sgprSrdD+3], 0, offen, offset:0,  glc slc // store D
s_nop 0                                            // 1 wait state required when next inst writes vgprs held by previous dwordx4 store inst
/* optSingleColVgpr=0 optSharedColVgpr=0 optSGPRUsage=BufferLoad_Edge_Mask optSrdIncForRow=0 */

/******************************************/
/* Global Write Alpha Edge Batch #1 (d1,d0,vc1,vc0) = */
/*    (9,0,1,0:vw1); (9,1,1,0:vw1); (9,0,2,0:vw1); (9,1,2,0:vw1); (9,0,3,0:vw1); (9,1,3,0:vw1); (10,0,0,0:vw1); (10,1,0,0:vw1); (10,0,1,0:vw1); (10,1,1,0:vw1); (10,0,2,0:vw1); (10,1,2,0:vw1); (10,0,3,0:vw1); (10,1,3,0:vw1); (11,0,0,0:vw1); (11,1,0,0:vw1); (11,0,1,0:vw1); (11,1,1,0:vw1); (11,0,2,0:vw1); (11,1,2,0:vw1); (11,0,3,0:vw1); (11,1,3,0:vw1) */
/******************************************/

/* calc coords, apply mask, and issue loads (if necessary) */
/* (d1,vc1,d0,vc0)=(9,1,0,0) */
_v_add_co_u32 v97, vcc, v97, 1                     // coord1.1: coord1Vgpr += d1*sg1*VW + vc1

/* Fix for UseInitialStridesCD, emitAddressSetupCode */
_v_add_u32 v98, v98, s[sgprStrideC1J]              // ROWINC- Move cinRowPtr to next row
_v_add_u32 v99, v99, s[sgprStrideD1J]              // Move coutRowPtr to next row
v_cmp_lt_u32 s[52:53], v96, s[sgprSizeI]           // coord0 < size0
v_cmp_lt_u32 s[56:57], v97, s[sgprSizeJ]           // coord1 < size1
s_and_b64 s[56:57], s[52:53], s[56:57]             // in0 && in1
_v_add_lshl_u32 v102, v99, v96, 0x1                // scaleToBpe: accumulate d0 lower and *= bpe into Cin addr
v_cndmask_b32 v102, -1, v102, s[56:57]             // LDD clip if OOB. offset
/* (d1,vc1,d0,vc0)=(9,1,1,0) */
_v_add_co_u32 v100, vcc, v96, 64                   // coord0.1: coord0 += d0*sg0*VW + vc0
v_cmp_lt_u32 s[52:53], v100, s[sgprSizeI]          // coord0 < size0
v_cmp_lt_u32 s[56:57], v97, s[sgprSizeJ]           // coord1 < size1
s_and_b64 s[56:57], s[52:53], s[56:57]             // in0 && in1
_v_add_lshl_u32 v104, v99, v100, 0x1               // scaleToBpe: accumulate d0 lower and *= bpe into Cin addr
v_cndmask_b32 v104, -1, v104, s[56:57]             // LDD clip if OOB. offset
/* (d1,vc1,d0,vc0)=(9,2,0,0) */
_v_add_co_u32 v97, vcc, v97, 1                     // coord1.1: coord1Vgpr += d1*sg1*VW + vc1

/* Fix for UseInitialStridesCD, emitAddressSetupCode */
_v_add_u32 v98, v98, s[sgprStrideC1J]              // ROWINC- Move cinRowPtr to next row
_v_add_u32 v99, v99, s[sgprStrideD1J]              // Move coutRowPtr to next row
v_cmp_lt_u32 s[52:53], v96, s[sgprSizeI]           // coord0 < size0
v_cmp_lt_u32 s[56:57], v97, s[sgprSizeJ]           // coord1 < size1
s_and_b64 s[56:57], s[52:53], s[56:57]             // in0 && in1
_v_add_lshl_u32 v106, v99, v96, 0x1                // scaleToBpe: accumulate d0 lower and *= bpe into Cin addr
v_cndmask_b32 v106, -1, v106, s[56:57]             // LDD clip if OOB. offset
/* (d1,vc1,d0,vc0)=(9,2,1,0) */
_v_add_co_u32 v100, vcc, v96, 64                   // coord0.1: coord0 += d0*sg0*VW + vc0
v_cmp_lt_u32 s[52:53], v100, s[sgprSizeI]          // coord0 < size0
v_cmp_lt_u32 s[56:57], v97, s[sgprSizeJ]           // coord1 < size1
s_and_b64 s[56:57], s[52:53], s[56:57]             // in0 && in1
_v_add_lshl_u32 v108, v99, v100, 0x1               // scaleToBpe: accumulate d0 lower and *= bpe into Cin addr
v_cndmask_b32 v108, -1, v108, s[56:57]             // LDD clip if OOB. offset
	;; [unrolled: 18-line block ×3, first 2 shown]
/* (d1,vc1,d0,vc0)=(10,0,0,0) */
_v_add_co_u32 v97, vcc, v97, 5                     // coord1.1: coord1Vgpr += d1*sg1*VW + vc1

/* Fix for UseInitialStridesCD, emitAddressSetupCode */
s_mul_i32 s52, s[sgprStrideC1J], 5                 // scale stride
_v_add_u32 v98, v98, s52                           // ROWINC- Move cinRowPtr to next row
s_mul_i32 s52, s[sgprStrideD1J], 5                 // scale stride
_v_add_u32 v99, v99, s52                           // Move coutRowPtr to next row
v_cmp_lt_u32 s[52:53], v96, s[sgprSizeI]           // coord0 < size0
v_cmp_lt_u32 s[56:57], v97, s[sgprSizeJ]           // coord1 < size1
s_and_b64 s[56:57], s[52:53], s[56:57]             // in0 && in1
_v_add_lshl_u32 v114, v99, v96, 0x1                // scaleToBpe: accumulate d0 lower and *= bpe into Cin addr
v_cndmask_b32 v114, -1, v114, s[56:57]             // LDD clip if OOB. offset
/* (d1,vc1,d0,vc0)=(10,0,1,0) */
_v_add_co_u32 v100, vcc, v96, 64                   // coord0.1: coord0 += d0*sg0*VW + vc0
v_cmp_lt_u32 s[52:53], v100, s[sgprSizeI]          // coord0 < size0
v_cmp_lt_u32 s[56:57], v97, s[sgprSizeJ]           // coord1 < size1
s_and_b64 s[56:57], s[52:53], s[56:57]             // in0 && in1
_v_add_lshl_u32 v116, v99, v100, 0x1               // scaleToBpe: accumulate d0 lower and *= bpe into Cin addr
v_cndmask_b32 v116, -1, v116, s[56:57]             // LDD clip if OOB. offset
/* (d1,vc1,d0,vc0)=(10,1,0,0) */
_v_add_co_u32 v97, vcc, v97, 1                     // coord1.1: coord1Vgpr += d1*sg1*VW + vc1

/* Fix for UseInitialStridesCD, emitAddressSetupCode */
_v_add_u32 v98, v98, s[sgprStrideC1J]              // ROWINC- Move cinRowPtr to next row
_v_add_u32 v99, v99, s[sgprStrideD1J]              // Move coutRowPtr to next row
v_cmp_lt_u32 s[52:53], v96, s[sgprSizeI]           // coord0 < size0
v_cmp_lt_u32 s[56:57], v97, s[sgprSizeJ]           // coord1 < size1
s_and_b64 s[56:57], s[52:53], s[56:57]             // in0 && in1
_v_add_lshl_u32 v118, v99, v96, 0x1                // scaleToBpe: accumulate d0 lower and *= bpe into Cin addr
v_cndmask_b32 v118, -1, v118, s[56:57]             // LDD clip if OOB. offset
/* (d1,vc1,d0,vc0)=(10,1,1,0) */
_v_add_co_u32 v100, vcc, v96, 64                   // coord0.1: coord0 += d0*sg0*VW + vc0
v_cmp_lt_u32 s[52:53], v100, s[sgprSizeI]          // coord0 < size0
v_cmp_lt_u32 s[56:57], v97, s[sgprSizeJ]           // coord1 < size1
s_and_b64 s[56:57], s[52:53], s[56:57]             // in0 && in1
_v_add_lshl_u32 v120, v99, v100, 0x1               // scaleToBpe: accumulate d0 lower and *= bpe into Cin addr
v_cndmask_b32 v120, -1, v120, s[56:57]             // LDD clip if OOB. offset
/* (d1,vc1,d0,vc0)=(10,2,0,0) */
_v_add_co_u32 v97, vcc, v97, 1                     // coord1.1: coord1Vgpr += d1*sg1*VW + vc1

/* Fix for UseInitialStridesCD, emitAddressSetupCode */
_v_add_u32 v98, v98, s[sgprStrideC1J]              // ROWINC- Move cinRowPtr to next row
_v_add_u32 v99, v99, s[sgprStrideD1J]              // Move coutRowPtr to next row
	;; [unrolled: 18-line block ×3, first 2 shown]
v_cmp_lt_u32 s[52:53], v96, s[sgprSizeI]           // coord0 < size0
v_cmp_lt_u32 s[56:57], v97, s[sgprSizeJ]           // coord1 < size1
s_and_b64 s[56:57], s[52:53], s[56:57]             // in0 && in1
_v_add_lshl_u32 v126, v99, v96, 0x1                // scaleToBpe: accumulate d0 lower and *= bpe into Cin addr
v_cndmask_b32 v126, -1, v126, s[56:57]             // LDD clip if OOB. offset
/* (d1,vc1,d0,vc0)=(10,3,1,0) */
_v_add_co_u32 v100, vcc, v96, 64                   // coord0.1: coord0 += d0*sg0*VW + vc0
v_cmp_lt_u32 s[52:53], v100, s[sgprSizeI]          // coord0 < size0
v_cmp_lt_u32 s[56:57], v97, s[sgprSizeJ]           // coord1 < size1
s_and_b64 s[56:57], s[52:53], s[56:57]             // in0 && in1
_v_add_lshl_u32 v128, v99, v100, 0x1               // scaleToBpe: accumulate d0 lower and *= bpe into Cin addr
v_cndmask_b32 v128, -1, v128, s[56:57]             // LDD clip if OOB. offset
/* (d1,vc1,d0,vc0)=(11,0,0,0) */
_v_add_co_u32 v97, vcc, v97, 5                     // coord1.1: coord1Vgpr += d1*sg1*VW + vc1

/* Fix for UseInitialStridesCD, emitAddressSetupCode */
s_mul_i32 s52, s[sgprStrideC1J], 5                 // scale stride
_v_add_u32 v98, v98, s52                           // ROWINC- Move cinRowPtr to next row
s_mul_i32 s52, s[sgprStrideD1J], 5                 // scale stride
_v_add_u32 v99, v99, s52                           // Move coutRowPtr to next row
v_cmp_lt_u32 s[52:53], v96, s[sgprSizeI]           // coord0 < size0
v_cmp_lt_u32 s[56:57], v97, s[sgprSizeJ]           // coord1 < size1
s_and_b64 s[56:57], s[52:53], s[56:57]             // in0 && in1
_v_add_lshl_u32 v130, v99, v96, 0x1                // scaleToBpe: accumulate d0 lower and *= bpe into Cin addr
v_cndmask_b32 v130, -1, v130, s[56:57]             // LDD clip if OOB. offset
/* (d1,vc1,d0,vc0)=(11,0,1,0) */
_v_add_co_u32 v100, vcc, v96, 64                   // coord0.1: coord0 += d0*sg0*VW + vc0
v_cmp_lt_u32 s[52:53], v100, s[sgprSizeI]          // coord0 < size0
v_cmp_lt_u32 s[56:57], v97, s[sgprSizeJ]           // coord1 < size1
s_and_b64 s[56:57], s[52:53], s[56:57]             // in0 && in1
_v_add_lshl_u32 v132, v99, v100, 0x1               // scaleToBpe: accumulate d0 lower and *= bpe into Cin addr
v_cndmask_b32 v132, -1, v132, s[56:57]             // LDD clip if OOB. offset
/* (d1,vc1,d0,vc0)=(11,1,0,0) */
_v_add_co_u32 v97, vcc, v97, 1                     // coord1.1: coord1Vgpr += d1*sg1*VW + vc1

/* Fix for UseInitialStridesCD, emitAddressSetupCode */
_v_add_u32 v98, v98, s[sgprStrideC1J]              // ROWINC- Move cinRowPtr to next row
_v_add_u32 v99, v99, s[sgprStrideD1J]              // Move coutRowPtr to next row
v_cmp_lt_u32 s[52:53], v96, s[sgprSizeI]           // coord0 < size0
v_cmp_lt_u32 s[56:57], v97, s[sgprSizeJ]           // coord1 < size1
s_and_b64 s[56:57], s[52:53], s[56:57]             // in0 && in1
_v_add_lshl_u32 v134, v99, v96, 0x1                // scaleToBpe: accumulate d0 lower and *= bpe into Cin addr
v_cndmask_b32 v134, -1, v134, s[56:57]             // LDD clip if OOB. offset
/* (d1,vc1,d0,vc0)=(11,1,1,0) */
_v_add_co_u32 v100, vcc, v96, 64                   // coord0.1: coord0 += d0*sg0*VW + vc0
v_cmp_lt_u32 s[52:53], v100, s[sgprSizeI]          // coord0 < size0
v_cmp_lt_u32 s[56:57], v97, s[sgprSizeJ]           // coord1 < size1
s_and_b64 s[56:57], s[52:53], s[56:57]             // in0 && in1
_v_add_lshl_u32 v136, v99, v100, 0x1               // scaleToBpe: accumulate d0 lower and *= bpe into Cin addr
v_cndmask_b32 v136, -1, v136, s[56:57]             // LDD clip if OOB. offset
/* (d1,vc1,d0,vc0)=(11,2,0,0) */
_v_add_co_u32 v97, vcc, v97, 1                     // coord1.1: coord1Vgpr += d1*sg1*VW + vc1

/* Fix for UseInitialStridesCD, emitAddressSetupCode */
_v_add_u32 v98, v98, s[sgprStrideC1J]              // ROWINC- Move cinRowPtr to next row
_v_add_u32 v99, v99, s[sgprStrideD1J]              // Move coutRowPtr to next row
	;; [unrolled: 18-line block ×3, first 2 shown]
v_cmp_lt_u32 s[52:53], v96, s[sgprSizeI]           // coord0 < size0
v_cmp_lt_u32 s[56:57], v97, s[sgprSizeJ]           // coord1 < size1
s_and_b64 s[56:57], s[52:53], s[56:57]             // in0 && in1
_v_add_lshl_u32 v142, v99, v96, 0x1                // scaleToBpe: accumulate d0 lower and *= bpe into Cin addr
v_cndmask_b32 v142, -1, v142, s[56:57]             // LDD clip if OOB. offset
/* (d1,vc1,d0,vc0)=(11,3,1,0) */
_v_add_co_u32 v100, vcc, v96, 64                   // coord0.1: coord0 += d0*sg0*VW + vc0
v_cmp_lt_u32 s[52:53], v100, s[sgprSizeI]          // coord0 < size0
v_cmp_lt_u32 s[56:57], v97, s[sgprSizeJ]           // coord1 < size1
s_and_b64 s[56:57], s[52:53], s[56:57]             // in0 && in1
_v_add_lshl_u32 v149, v99, v100, 0x1               // scaleToBpe: accumulate d0 lower and *= bpe into Cin addr
v_cndmask_b32 v149, -1, v149, s[56:57]             // LDD clip if OOB. offset

/* rC *= alpha batchElements=[(9, 0, 1, 0), (9, 1, 1, 0), (9, 0, 2, 0), (9, 1, 2, 0), (9, 0, 3, 0), (9, 1, 3, 0), (10, 0, 0, 0), (10, 1, 0, 0), (10, 0, 1, 0), (10, 1, 1, 0), (10, 0, 2, 0), (10, 1, 2, 0), (10, 0, 3, 0), (10, 1, 3, 0), (11, 0, 0, 0), (11, 1, 0, 0), (11, 0, 1, 0), (11, 1, 1, 0), (11, 0, 2, 0), (11, 1, 2, 0), (11, 0, 3, 0), (11, 1, 3, 0)] */
v_mul_f32 v[vgprValuC+103], s[sgprAlpha], v[vgprValuC+69] // Multiply MI out reg with alpha
v_mul_f32 v[vgprValuC+105], s[sgprAlpha], v[vgprValuC+85] // Multiply MI out reg with alpha
	;; [unrolled: 1-line block ×22, first 2 shown]

/* apply mask, calc new C and issue writes */
v_cvt_f16_f32 v[vgprValuC+103], v[vgprValuC+103]   // convert C to fp16
_buffer_store_b16 v103, v102, s[sgprSrdD:sgprSrdD+3], 0, offen, offset:0,  glc slc // store D
v_cvt_f16_f32 v[vgprValuC+105], v[vgprValuC+105]   // convert C to fp16
_buffer_store_b16 v105, v104, s[sgprSrdD:sgprSrdD+3], 0, offen, offset:0,  glc slc // store D
	;; [unrolled: 2-line block ×22, first 2 shown]
s_nop 0                                            // 1 wait state required when next inst writes vgprs held by previous dwordx4 store inst
s_branch label_GW_End_284                          // jump to end
GW_Beta_285:
s_and_b32 s32, 127, s[sgprSizeI]                   // s32 = s[sgprSizeI] % 128
s_add_u32 s33, -0x1, s[sgprNumWorkGroups0]         // 
s_cmp_ge_u32 s[sgprWorkGroup0], s33                // wg0 >= nwg0-1 ?
s_cselect_b32 s32, s32, 0                          // set rMT0
s_cmpk_gt_u32 s32, 0x0                             // rMT0 > 0
s_cbranch_scc1 GW_B1_E1_283                        // jump if edges required
s_mov_b32 s35, 0x0                                 // STATIC_DIV: divisior=192
s_mul_i32 s34, 0x2aa, s[sgprSizeJ]                 // tmp1 = dividend * magic hi
s_lshl_b64 s[34:35], s[34:35], 0x10                // left shift 16 bits
s_mul_i32 s33, s[sgprSizeJ], 0xaaab                // tmp0 = dividend * magic lo
s_add_u32 s34, s33, s34                            // add lo
s_addc_u32 s35, s35, 0x0                           // add hi
s_lshr_b64 s[34:35], s[34:35], 0x21                // tmp1 = (dividend * magic) << shift
s_mov_b32 s33, s34                                 // quotient
s_mul_i32 s34, s33, 0xc0                           // quotient*divisor
s_sub_u32 s32, s[sgprSizeJ], s34                   // rReg = dividend - quotient*divisor
s_add_u32 s33, -0x1, s[sgprNumWorkGroups1]         // 
s_cmp_ge_u32 s[sgprWorkGroup1], s33                // wg1 >= nwg1-1
s_cselect_b32 s32, s32, 0                          // set rMT1
s_cmpk_gt_u32 s32, 0x0                             // rMT1 > 0
s_cbranch_scc1 GW_B1_E1_283                        // jump if edges required
GW_B1_E0_280:

/* edge=0, allocate 2 sgpr. perBatchTmpS=2 perBatchMaskS=0 perElementMaskS=0 elementsPerBatch=72 */
/* optSingleColVgpr=1 optSharedColVgpr=0 optSGPRUsage=BufferLoad_Mask optSrdIncForRow=1 */

/******************************************/
/* Global Write Alpha Beta Batch #0 (d1,d0,vc1,vc0) = */
/*    (0,0,0,0:vw1); (0,1,0,0:vw1); (0,0,1,0:vw1); (0,1,1,0:vw1); (0,0,2,0:vw1); (0,1,2,0:vw1); (0,0,3,0:vw1); (0,1,3,0:vw1); (1,0,0,0:vw1); (1,1,0,0:vw1); (1,0,1,0:vw1); (1,1,1,0:vw1); (1,0,2,0:vw1); (1,1,2,0:vw1); (1,0,3,0:vw1); (1,1,3,0:vw1); (2,0,0,0:vw1); (2,1,0,0:vw1); (2,0,1,0:vw1); (2,1,1,0:vw1); (2,0,2,0:vw1); (2,1,2,0:vw1); (2,0,3,0:vw1); (2,1,3,0:vw1); (3,0,0,0:vw1); (3,1,0,0:vw1); (3,0,1,0:vw1); (3,1,1,0:vw1); (3,0,2,0:vw1); (3,1,2,0:vw1); (3,0,3,0:vw1); (3,1,3,0:vw1); (4,0,0,0:vw1); (4,1,0,0:vw1); (4,0,1,0:vw1); (4,1,1,0:vw1); (4,0,2,0:vw1); (4,1,2,0:vw1); (4,0,3,0:vw1); (4,1,3,0:vw1); (5,0,0,0:vw1); (5,1,0,0:vw1); (5,0,1,0:vw1); (5,1,1,0:vw1); (5,0,2,0:vw1); (5,1,2,0:vw1); (5,0,3,0:vw1); (5,1,3,0:vw1); (6,0,0,0:vw1); (6,1,0,0:vw1); (6,0,1,0:vw1); (6,1,1,0:vw1); (6,0,2,0:vw1); (6,1,2,0:vw1); (6,0,3,0:vw1); (6,1,3,0:vw1); (7,0,0,0:vw1); (7,1,0,0:vw1); (7,0,1,0:vw1); (7,1,1,0:vw1); (7,0,2,0:vw1); (7,1,2,0:vw1); (7,0,3,0:vw1); (7,1,3,0:vw1); (8,0,0,0:vw1); (8,1,0,0:vw1); (8,0,1,0:vw1); (8,1,1,0:vw1); (8,0,2,0:vw1); (8,1,2,0:vw1); (8,0,3,0:vw1); (8,1,3,0:vw1) */
/******************************************/

/* calc coords, apply mask, and issue loads (if necessary) */
/* (d1,vc1,d0,vc0)=(0,0,0,0) */
_v_add_lshl_u32 v103, v98, v96, 0x1                // optSingleColVgpr scaleToBpe: sharedAddrVgpr <- cinRowPtr + coord0, scaled by BPE. BSHERE:coord0=96, coord0Vgpr=96
_buffer_load_d16_b16 v104, v103, s[sgprSrdC:sgprSrdC+3], 0, offen offset:0,  glc slc // load C for beta calc
/* (d1,vc1,d0,vc0)=(0,0,1,0) */
_buffer_load_d16_b16 v106, v103, s[sgprSrdC:sgprSrdC+3], 0, offen offset:128,  glc slc // load C for beta calc
/* (d1,vc1,d0,vc0)=(0,1,0,0) */
s_lshl_b32  s32, s[sgprStrideC1J], 1               // incToNextRow: Scale by BPE
s_add_u32  s[sgprSrdC+0], s[sgprSrdC+0], s32       // incToNextRow: gra SRD += inc(lower)
s_addc_u32  s[sgprSrdC+1], s[sgprSrdC+1], 0        // incToNextRow: gra SRD += inc(upper)
_buffer_load_d16_b16 v108, v103, s[sgprSrdC:sgprSrdC+3], 0, offen offset:0,  glc slc // load C for beta calc
/* (d1,vc1,d0,vc0)=(0,1,1,0) */
_buffer_load_d16_b16 v110, v103, s[sgprSrdC:sgprSrdC+3], 0, offen offset:128,  glc slc // load C for beta calc
/* (d1,vc1,d0,vc0)=(0,2,0,0) */
s_lshl_b32  s32, s[sgprStrideC1J], 1               // incToNextRow: Scale by BPE
s_add_u32  s[sgprSrdC+0], s[sgprSrdC+0], s32       // incToNextRow: gra SRD += inc(lower)
s_addc_u32  s[sgprSrdC+1], s[sgprSrdC+1], 0        // incToNextRow: gra SRD += inc(upper)
_buffer_load_d16_b16 v112, v103, s[sgprSrdC:sgprSrdC+3], 0, offen offset:0,  glc slc // load C for beta calc
/* (d1,vc1,d0,vc0)=(0,2,1,0) */
_buffer_load_d16_b16 v114, v103, s[sgprSrdC:sgprSrdC+3], 0, offen offset:128,  glc slc // load C for beta calc
/* (d1,vc1,d0,vc0)=(0,3,0,0) */
s_lshl_b32  s32, s[sgprStrideC1J], 1               // incToNextRow: Scale by BPE
s_add_u32  s[sgprSrdC+0], s[sgprSrdC+0], s32       // incToNextRow: gra SRD += inc(lower)
s_addc_u32  s[sgprSrdC+1], s[sgprSrdC+1], 0        // incToNextRow: gra SRD += inc(upper)
_buffer_load_d16_b16 v116, v103, s[sgprSrdC:sgprSrdC+3], 0, offen offset:0,  glc slc // load C for beta calc
/* (d1,vc1,d0,vc0)=(0,3,1,0) */
_buffer_load_d16_b16 v118, v103, s[sgprSrdC:sgprSrdC+3], 0, offen offset:128,  glc slc // load C for beta calc
/* (d1,vc1,d0,vc0)=(1,0,0,0) */
s_mul_i32 s32, s[sgprStrideC1J], 10                // scale StrideC *= numRows(5) * bpe
s_add_u32  s[sgprSrdC+0], s[sgprSrdC+0], s32       // incToNextRow: gra SRD += inc(lower)
s_addc_u32  s[sgprSrdC+1], s[sgprSrdC+1], 0        // incToNextRow: gra SRD += inc(upper)
_buffer_load_d16_b16 v120, v103, s[sgprSrdC:sgprSrdC+3], 0, offen offset:0,  glc slc // load C for beta calc
/* (d1,vc1,d0,vc0)=(1,0,1,0) */
_buffer_load_d16_b16 v122, v103, s[sgprSrdC:sgprSrdC+3], 0, offen offset:128,  glc slc // load C for beta calc
/* (d1,vc1,d0,vc0)=(1,1,0,0) */
s_lshl_b32  s32, s[sgprStrideC1J], 1               // incToNextRow: Scale by BPE
s_add_u32  s[sgprSrdC+0], s[sgprSrdC+0], s32       // incToNextRow: gra SRD += inc(lower)
s_addc_u32  s[sgprSrdC+1], s[sgprSrdC+1], 0        // incToNextRow: gra SRD += inc(upper)
_buffer_load_d16_b16 v124, v103, s[sgprSrdC:sgprSrdC+3], 0, offen offset:0,  glc slc // load C for beta calc
/* (d1,vc1,d0,vc0)=(1,1,1,0) */
_buffer_load_d16_b16 v126, v103, s[sgprSrdC:sgprSrdC+3], 0, offen offset:128,  glc slc // load C for beta calc
/* (d1,vc1,d0,vc0)=(1,2,0,0) */
s_lshl_b32  s32, s[sgprStrideC1J], 1               // incToNextRow: Scale by BPE
s_add_u32  s[sgprSrdC+0], s[sgprSrdC+0], s32       // incToNextRow: gra SRD += inc(lower)
s_addc_u32  s[sgprSrdC+1], s[sgprSrdC+1], 0        // incToNextRow: gra SRD += inc(upper)
_buffer_load_d16_b16 v128, v103, s[sgprSrdC:sgprSrdC+3], 0, offen offset:0,  glc slc // load C for beta calc
/* (d1,vc1,d0,vc0)=(1,2,1,0) */
_buffer_load_d16_b16 v130, v103, s[sgprSrdC:sgprSrdC+3], 0, offen offset:128,  glc slc // load C for beta calc
/* (d1,vc1,d0,vc0)=(1,3,0,0) */
s_lshl_b32  s32, s[sgprStrideC1J], 1               // incToNextRow: Scale by BPE
s_add_u32  s[sgprSrdC+0], s[sgprSrdC+0], s32       // incToNextRow: gra SRD += inc(lower)
s_addc_u32  s[sgprSrdC+1], s[sgprSrdC+1], 0        // incToNextRow: gra SRD += inc(upper)
_buffer_load_d16_b16 v132, v103, s[sgprSrdC:sgprSrdC+3], 0, offen offset:0,  glc slc // load C for beta calc
/* (d1,vc1,d0,vc0)=(1,3,1,0) */
_buffer_load_d16_b16 v134, v103, s[sgprSrdC:sgprSrdC+3], 0, offen offset:128,  glc slc // load C for beta calc
/* (d1,vc1,d0,vc0)=(2,0,0,0) */
s_mul_i32 s32, s[sgprStrideC1J], 10                // scale StrideC *= numRows(5) * bpe
s_add_u32  s[sgprSrdC+0], s[sgprSrdC+0], s32       // incToNextRow: gra SRD += inc(lower)
s_addc_u32  s[sgprSrdC+1], s[sgprSrdC+1], 0        // incToNextRow: gra SRD += inc(upper)
	;; [unrolled: 28-line block ×8, first 2 shown]
_buffer_load_d16_b16 v237, v103, s[sgprSrdC:sgprSrdC+3], 0, offen offset:0,  glc slc // load C for beta calc
/* (d1,vc1,d0,vc0)=(8,0,1,0) */
_buffer_load_d16_b16 v239, v103, s[sgprSrdC:sgprSrdC+3], 0, offen offset:128,  glc slc // load C for beta calc
/* (d1,vc1,d0,vc0)=(8,1,0,0) */
s_lshl_b32  s32, s[sgprStrideC1J], 1               // incToNextRow: Scale by BPE
s_add_u32  s[sgprSrdC+0], s[sgprSrdC+0], s32       // incToNextRow: gra SRD += inc(lower)
s_addc_u32  s[sgprSrdC+1], s[sgprSrdC+1], 0        // incToNextRow: gra SRD += inc(upper)
_buffer_load_d16_b16 v241, v103, s[sgprSrdC:sgprSrdC+3], 0, offen offset:0,  glc slc // load C for beta calc
/* (d1,vc1,d0,vc0)=(8,1,1,0) */
_buffer_load_d16_b16 v243, v103, s[sgprSrdC:sgprSrdC+3], 0, offen offset:128,  glc slc // load C for beta calc
/* (d1,vc1,d0,vc0)=(8,2,0,0) */
s_lshl_b32  s32, s[sgprStrideC1J], 1               // incToNextRow: Scale by BPE
s_add_u32  s[sgprSrdC+0], s[sgprSrdC+0], s32       // incToNextRow: gra SRD += inc(lower)
s_addc_u32  s[sgprSrdC+1], s[sgprSrdC+1], 0        // incToNextRow: gra SRD += inc(upper)
	;; [unrolled: 7-line block ×3, first 2 shown]
_buffer_load_d16_b16 v249, v103, s[sgprSrdC:sgprSrdC+3], 0, offen offset:0,  glc slc // load C for beta calc
/* (d1,vc1,d0,vc0)=(8,3,1,0) */
_buffer_load_d16_b16 v251, v103, s[sgprSrdC:sgprSrdC+3], 0, offen offset:128,  glc slc // load C for beta calc
_v_add_lshl_u32 v102, v99, v96, 0x1                // optSingleColVgpr scaleToBpe: sharedAddrVgpr <- cinRowPtr + coord0, scaled by BPE. BSHERE:coord0=96, coord0Vgpr=96

/* rC *= alpha batchElements=[(0, 0, 0, 0), (0, 1, 0, 0), (0, 0, 1, 0), (0, 1, 1, 0), (0, 0, 2, 0), (0, 1, 2, 0), (0, 0, 3, 0), (0, 1, 3, 0), (1, 0, 0, 0), (1, 1, 0, 0), (1, 0, 1, 0), (1, 1, 1, 0), (1, 0, 2, 0), (1, 1, 2, 0), (1, 0, 3, 0), (1, 1, 3, 0), (2, 0, 0, 0), (2, 1, 0, 0), (2, 0, 1, 0), (2, 1, 1, 0), (2, 0, 2, 0), (2, 1, 2, 0), (2, 0, 3, 0), (2, 1, 3, 0), (3, 0, 0, 0), (3, 1, 0, 0), (3, 0, 1, 0), (3, 1, 1, 0), (3, 0, 2, 0), (3, 1, 2, 0), (3, 0, 3, 0), (3, 1, 3, 0), (4, 0, 0, 0), (4, 1, 0, 0), (4, 0, 1, 0), (4, 1, 1, 0), (4, 0, 2, 0), (4, 1, 2, 0), (4, 0, 3, 0), (4, 1, 3, 0), (5, 0, 0, 0), (5, 1, 0, 0), (5, 0, 1, 0), (5, 1, 1, 0), (5, 0, 2, 0), (5, 1, 2, 0), (5, 0, 3, 0), (5, 1, 3, 0), (6, 0, 0, 0), (6, 1, 0, 0), (6, 0, 1, 0), (6, 1, 1, 0), (6, 0, 2, 0), (6, 1, 2, 0), (6, 0, 3, 0), (6, 1, 3, 0), (7, 0, 0, 0), (7, 1, 0, 0), (7, 0, 1, 0), (7, 1, 1, 0), (7, 0, 2, 0), (7, 1, 2, 0), (7, 0, 3, 0), (7, 1, 3, 0), (8, 0, 0, 0), (8, 1, 0, 0), (8, 0, 1, 0), (8, 1, 1, 0), (8, 0, 2, 0), (8, 1, 2, 0), (8, 0, 3, 0), (8, 1, 3, 0)] */
v_mul_f32 v[vgprValuC+105], s[sgprAlpha], v[vgprValuC+0] // Multiply MI out reg with alpha
v_mul_f32 v[vgprValuC+107], s[sgprAlpha], v[vgprValuC+16] // Multiply MI out reg with alpha
	;; [unrolled: 1-line block ×72, first 2 shown]

/* apply mask, calc new C and issue writes */

s_waitcnt vmcnt(63)                                // wait C (interleaved) 71 = 72 - 0 + 0 - 1
v_fma_mix_f32 v[vgprValuC+105], s[sgprBeta], v104, v[vgprValuC+105], op_sel:[0,0,0] op_sel_hi:[0,1,0] // //C*=beta
v_cvt_f16_f32 v[vgprValuC+105], v[vgprValuC+105]   // convert C to fp16
_buffer_store_b16 v105, v102, s[sgprSrdD:sgprSrdD+3], 0, offen, offset:0,  glc slc // store D

s_waitcnt vmcnt(63)                                // wait C (interleaved) 71 = 72 - 1 + 1 - 1
v_fma_mix_f32 v[vgprValuC+107], s[sgprBeta], v106, v[vgprValuC+107], op_sel:[0,0,0] op_sel_hi:[0,1,0] // //C*=beta
v_cvt_f16_f32 v[vgprValuC+107], v[vgprValuC+107]   // convert C to fp16
_buffer_store_b16 v107, v102, s[sgprSrdD:sgprSrdD+3], 0, offen, offset:128,  glc slc // store D

s_waitcnt vmcnt(63)                                // wait C (interleaved) 71 = 72 - 2 + 2 - 1
v_fma_mix_f32 v[vgprValuC+109], s[sgprBeta], v108, v[vgprValuC+109], op_sel:[0,0,0] op_sel_hi:[0,1,0] // //C*=beta
v_cvt_f16_f32 v[vgprValuC+109], v[vgprValuC+109]   // convert C to fp16
s_lshl_b32  s32, s[sgprStrideD1J], 1               // incToNextRow: Scale by BPE
s_add_u32  s[sgprSrdD+0], s[sgprSrdD+0], s32       // incToNextRow: gra SRD += inc(lower)
s_addc_u32  s[sgprSrdD+1], s[sgprSrdD+1], 0        // incToNextRow: gra SRD += inc(upper)
_buffer_store_b16 v109, v102, s[sgprSrdD:sgprSrdD+3], 0, offen, offset:0,  glc slc // store D

s_waitcnt vmcnt(63)                                // wait C (interleaved) 71 = 72 - 3 + 3 - 1
v_fma_mix_f32 v[vgprValuC+111], s[sgprBeta], v110, v[vgprValuC+111], op_sel:[0,0,0] op_sel_hi:[0,1,0] // //C*=beta
v_cvt_f16_f32 v[vgprValuC+111], v[vgprValuC+111]   // convert C to fp16
_buffer_store_b16 v111, v102, s[sgprSrdD:sgprSrdD+3], 0, offen, offset:128,  glc slc // store D

s_waitcnt vmcnt(63)                                // wait C (interleaved) 71 = 72 - 4 + 4 - 1
v_fma_mix_f32 v[vgprValuC+113], s[sgprBeta], v112, v[vgprValuC+113], op_sel:[0,0,0] op_sel_hi:[0,1,0] // //C*=beta
v_cvt_f16_f32 v[vgprValuC+113], v[vgprValuC+113]   // convert C to fp16
s_lshl_b32  s32, s[sgprStrideD1J], 1               // incToNextRow: Scale by BPE
s_add_u32  s[sgprSrdD+0], s[sgprSrdD+0], s32       // incToNextRow: gra SRD += inc(lower)
s_addc_u32  s[sgprSrdD+1], s[sgprSrdD+1], 0        // incToNextRow: gra SRD += inc(upper)
_buffer_store_b16 v113, v102, s[sgprSrdD:sgprSrdD+3], 0, offen, offset:0,  glc slc // store D

s_waitcnt vmcnt(63)                                // wait C (interleaved) 71 = 72 - 5 + 5 - 1
v_fma_mix_f32 v[vgprValuC+115], s[sgprBeta], v114, v[vgprValuC+115], op_sel:[0,0,0] op_sel_hi:[0,1,0] // //C*=beta
v_cvt_f16_f32 v[vgprValuC+115], v[vgprValuC+115]   // convert C to fp16
_buffer_store_b16 v115, v102, s[sgprSrdD:sgprSrdD+3], 0, offen, offset:128,  glc slc // store D

s_waitcnt vmcnt(63)                                // wait C (interleaved) 71 = 72 - 6 + 6 - 1
v_fma_mix_f32 v[vgprValuC+117], s[sgprBeta], v116, v[vgprValuC+117], op_sel:[0,0,0] op_sel_hi:[0,1,0] // //C*=beta
v_cvt_f16_f32 v[vgprValuC+117], v[vgprValuC+117]   // convert C to fp16
s_lshl_b32  s32, s[sgprStrideD1J], 1               // incToNextRow: Scale by BPE
s_add_u32  s[sgprSrdD+0], s[sgprSrdD+0], s32       // incToNextRow: gra SRD += inc(lower)
s_addc_u32  s[sgprSrdD+1], s[sgprSrdD+1], 0        // incToNextRow: gra SRD += inc(upper)
_buffer_store_b16 v117, v102, s[sgprSrdD:sgprSrdD+3], 0, offen, offset:0,  glc slc // store D

s_waitcnt vmcnt(63)                                // wait C (interleaved) 71 = 72 - 7 + 7 - 1
v_fma_mix_f32 v[vgprValuC+119], s[sgprBeta], v118, v[vgprValuC+119], op_sel:[0,0,0] op_sel_hi:[0,1,0] // //C*=beta
v_cvt_f16_f32 v[vgprValuC+119], v[vgprValuC+119]   // convert C to fp16
_buffer_store_b16 v119, v102, s[sgprSrdD:sgprSrdD+3], 0, offen, offset:128,  glc slc // store D

s_waitcnt vmcnt(63)                                // wait C (interleaved) 71 = 72 - 8 + 8 - 1
v_fma_mix_f32 v[vgprValuC+121], s[sgprBeta], v120, v[vgprValuC+121], op_sel:[0,0,0] op_sel_hi:[0,1,0] // //C*=beta
v_cvt_f16_f32 v[vgprValuC+121], v[vgprValuC+121]   // convert C to fp16
s_mul_i32 s32, s[sgprStrideD1J], 10                // scale StrideD *= numRows(5) * bpe
s_add_u32  s[sgprSrdD+0], s[sgprSrdD+0], s32       // incToNextRow: gra SRD += inc(lower)
s_addc_u32  s[sgprSrdD+1], s[sgprSrdD+1], 0        // incToNextRow: gra SRD += inc(upper)
_buffer_store_b16 v121, v102, s[sgprSrdD:sgprSrdD+3], 0, offen, offset:0,  glc slc // store D

s_waitcnt vmcnt(63)                                // wait C (interleaved) 71 = 72 - 9 + 9 - 1
v_fma_mix_f32 v[vgprValuC+123], s[sgprBeta], v122, v[vgprValuC+123], op_sel:[0,0,0] op_sel_hi:[0,1,0] // //C*=beta
v_cvt_f16_f32 v[vgprValuC+123], v[vgprValuC+123]   // convert C to fp16
_buffer_store_b16 v123, v102, s[sgprSrdD:sgprSrdD+3], 0, offen, offset:128,  glc slc // store D

s_waitcnt vmcnt(63)                                // wait C (interleaved) 71 = 72 - 10 + 10 - 1
v_fma_mix_f32 v[vgprValuC+125], s[sgprBeta], v124, v[vgprValuC+125], op_sel:[0,0,0] op_sel_hi:[0,1,0] // //C*=beta
v_cvt_f16_f32 v[vgprValuC+125], v[vgprValuC+125]   // convert C to fp16
s_lshl_b32  s32, s[sgprStrideD1J], 1               // incToNextRow: Scale by BPE
s_add_u32  s[sgprSrdD+0], s[sgprSrdD+0], s32       // incToNextRow: gra SRD += inc(lower)
s_addc_u32  s[sgprSrdD+1], s[sgprSrdD+1], 0        // incToNextRow: gra SRD += inc(upper)
_buffer_store_b16 v125, v102, s[sgprSrdD:sgprSrdD+3], 0, offen, offset:0,  glc slc // store D

s_waitcnt vmcnt(63)                                // wait C (interleaved) 71 = 72 - 11 + 11 - 1
v_fma_mix_f32 v[vgprValuC+127], s[sgprBeta], v126, v[vgprValuC+127], op_sel:[0,0,0] op_sel_hi:[0,1,0] // //C*=beta
v_cvt_f16_f32 v[vgprValuC+127], v[vgprValuC+127]   // convert C to fp16
_buffer_store_b16 v127, v102, s[sgprSrdD:sgprSrdD+3], 0, offen, offset:128,  glc slc // store D

s_waitcnt vmcnt(63)                                // wait C (interleaved) 71 = 72 - 12 + 12 - 1
v_fma_mix_f32 v[vgprValuC+129], s[sgprBeta], v128, v[vgprValuC+129], op_sel:[0,0,0] op_sel_hi:[0,1,0] // //C*=beta
v_cvt_f16_f32 v[vgprValuC+129], v[vgprValuC+129]   // convert C to fp16
s_lshl_b32  s32, s[sgprStrideD1J], 1               // incToNextRow: Scale by BPE
s_add_u32  s[sgprSrdD+0], s[sgprSrdD+0], s32       // incToNextRow: gra SRD += inc(lower)
s_addc_u32  s[sgprSrdD+1], s[sgprSrdD+1], 0        // incToNextRow: gra SRD += inc(upper)
_buffer_store_b16 v129, v102, s[sgprSrdD:sgprSrdD+3], 0, offen, offset:0,  glc slc // store D

s_waitcnt vmcnt(63)                                // wait C (interleaved) 71 = 72 - 13 + 13 - 1
v_fma_mix_f32 v[vgprValuC+131], s[sgprBeta], v130, v[vgprValuC+131], op_sel:[0,0,0] op_sel_hi:[0,1,0] // //C*=beta
v_cvt_f16_f32 v[vgprValuC+131], v[vgprValuC+131]   // convert C to fp16
_buffer_store_b16 v131, v102, s[sgprSrdD:sgprSrdD+3], 0, offen, offset:128,  glc slc // store D

s_waitcnt vmcnt(63)                                // wait C (interleaved) 71 = 72 - 14 + 14 - 1
v_fma_mix_f32 v[vgprValuC+133], s[sgprBeta], v132, v[vgprValuC+133], op_sel:[0,0,0] op_sel_hi:[0,1,0] // //C*=beta
v_cvt_f16_f32 v[vgprValuC+133], v[vgprValuC+133]   // convert C to fp16
s_lshl_b32  s32, s[sgprStrideD1J], 1               // incToNextRow: Scale by BPE
s_add_u32  s[sgprSrdD+0], s[sgprSrdD+0], s32       // incToNextRow: gra SRD += inc(lower)
s_addc_u32  s[sgprSrdD+1], s[sgprSrdD+1], 0        // incToNextRow: gra SRD += inc(upper)
_buffer_store_b16 v133, v102, s[sgprSrdD:sgprSrdD+3], 0, offen, offset:0,  glc slc // store D

s_waitcnt vmcnt(63)                                // wait C (interleaved) 71 = 72 - 15 + 15 - 1
v_fma_mix_f32 v[vgprValuC+135], s[sgprBeta], v134, v[vgprValuC+135], op_sel:[0,0,0] op_sel_hi:[0,1,0] // //C*=beta
v_cvt_f16_f32 v[vgprValuC+135], v[vgprValuC+135]   // convert C to fp16
_buffer_store_b16 v135, v102, s[sgprSrdD:sgprSrdD+3], 0, offen, offset:128,  glc slc // store D

s_waitcnt vmcnt(63)                                // wait C (interleaved) 71 = 72 - 16 + 16 - 1
v_fma_mix_f32 v[vgprValuC+137], s[sgprBeta], v136, v[vgprValuC+137], op_sel:[0,0,0] op_sel_hi:[0,1,0] // //C*=beta
v_cvt_f16_f32 v[vgprValuC+137], v[vgprValuC+137]   // convert C to fp16
s_mul_i32 s32, s[sgprStrideD1J], 10                // scale StrideD *= numRows(5) * bpe
s_add_u32  s[sgprSrdD+0], s[sgprSrdD+0], s32       // incToNextRow: gra SRD += inc(lower)
s_addc_u32  s[sgprSrdD+1], s[sgprSrdD+1], 0        // incToNextRow: gra SRD += inc(upper)
_buffer_store_b16 v137, v102, s[sgprSrdD:sgprSrdD+3], 0, offen, offset:0,  glc slc // store D

s_waitcnt vmcnt(63)                                // wait C (interleaved) 71 = 72 - 17 + 17 - 1
v_fma_mix_f32 v[vgprValuC+139], s[sgprBeta], v138, v[vgprValuC+139], op_sel:[0,0,0] op_sel_hi:[0,1,0] // //C*=beta
v_cvt_f16_f32 v[vgprValuC+139], v[vgprValuC+139]   // convert C to fp16
_buffer_store_b16 v139, v102, s[sgprSrdD:sgprSrdD+3], 0, offen, offset:128,  glc slc // store D

s_waitcnt vmcnt(63)                                // wait C (interleaved) 71 = 72 - 18 + 18 - 1
v_fma_mix_f32 v[vgprValuC+141], s[sgprBeta], v140, v[vgprValuC+141], op_sel:[0,0,0] op_sel_hi:[0,1,0] // //C*=beta
v_cvt_f16_f32 v[vgprValuC+141], v[vgprValuC+141]   // convert C to fp16
s_lshl_b32  s32, s[sgprStrideD1J], 1               // incToNextRow: Scale by BPE
s_add_u32  s[sgprSrdD+0], s[sgprSrdD+0], s32       // incToNextRow: gra SRD += inc(lower)
s_addc_u32  s[sgprSrdD+1], s[sgprSrdD+1], 0        // incToNextRow: gra SRD += inc(upper)
_buffer_store_b16 v141, v102, s[sgprSrdD:sgprSrdD+3], 0, offen, offset:0,  glc slc // store D

s_waitcnt vmcnt(63)                                // wait C (interleaved) 71 = 72 - 19 + 19 - 1
v_fma_mix_f32 v[vgprValuC+143], s[sgprBeta], v142, v[vgprValuC+143], op_sel:[0,0,0] op_sel_hi:[0,1,0] // //C*=beta
v_cvt_f16_f32 v[vgprValuC+143], v[vgprValuC+143]   // convert C to fp16
_buffer_store_b16 v143, v102, s[sgprSrdD:sgprSrdD+3], 0, offen, offset:128,  glc slc // store D

s_waitcnt vmcnt(63)                                // wait C (interleaved) 71 = 72 - 20 + 20 - 1
v_fma_mix_f32 v[vgprValuC+150], s[sgprBeta], v149, v[vgprValuC+150], op_sel:[0,0,0] op_sel_hi:[0,1,0] // //C*=beta
v_cvt_f16_f32 v[vgprValuC+150], v[vgprValuC+150]   // convert C to fp16
s_lshl_b32  s32, s[sgprStrideD1J], 1               // incToNextRow: Scale by BPE
s_add_u32  s[sgprSrdD+0], s[sgprSrdD+0], s32       // incToNextRow: gra SRD += inc(lower)
s_addc_u32  s[sgprSrdD+1], s[sgprSrdD+1], 0        // incToNextRow: gra SRD += inc(upper)
_buffer_store_b16 v150, v102, s[sgprSrdD:sgprSrdD+3], 0, offen, offset:0,  glc slc // store D

s_waitcnt vmcnt(63)                                // wait C (interleaved) 71 = 72 - 21 + 21 - 1
v_fma_mix_f32 v[vgprValuC+152], s[sgprBeta], v151, v[vgprValuC+152], op_sel:[0,0,0] op_sel_hi:[0,1,0] // //C*=beta
v_cvt_f16_f32 v[vgprValuC+152], v[vgprValuC+152]   // convert C to fp16
_buffer_store_b16 v152, v102, s[sgprSrdD:sgprSrdD+3], 0, offen, offset:128,  glc slc // store D

s_waitcnt vmcnt(63)                                // wait C (interleaved) 71 = 72 - 22 + 22 - 1
v_fma_mix_f32 v[vgprValuC+154], s[sgprBeta], v153, v[vgprValuC+154], op_sel:[0,0,0] op_sel_hi:[0,1,0] // //C*=beta
v_cvt_f16_f32 v[vgprValuC+154], v[vgprValuC+154]   // convert C to fp16
s_lshl_b32  s32, s[sgprStrideD1J], 1               // incToNextRow: Scale by BPE
s_add_u32  s[sgprSrdD+0], s[sgprSrdD+0], s32       // incToNextRow: gra SRD += inc(lower)
s_addc_u32  s[sgprSrdD+1], s[sgprSrdD+1], 0        // incToNextRow: gra SRD += inc(upper)
_buffer_store_b16 v154, v102, s[sgprSrdD:sgprSrdD+3], 0, offen, offset:0,  glc slc // store D

s_waitcnt vmcnt(63)                                // wait C (interleaved) 71 = 72 - 23 + 23 - 1
v_fma_mix_f32 v[vgprValuC+156], s[sgprBeta], v155, v[vgprValuC+156], op_sel:[0,0,0] op_sel_hi:[0,1,0] // //C*=beta
v_cvt_f16_f32 v[vgprValuC+156], v[vgprValuC+156]   // convert C to fp16
_buffer_store_b16 v156, v102, s[sgprSrdD:sgprSrdD+3], 0, offen, offset:128,  glc slc // store D

s_waitcnt vmcnt(63)                                // wait C (interleaved) 71 = 72 - 24 + 24 - 1
v_fma_mix_f32 v[vgprValuC+158], s[sgprBeta], v157, v[vgprValuC+158], op_sel:[0,0,0] op_sel_hi:[0,1,0] // //C*=beta
v_cvt_f16_f32 v[vgprValuC+158], v[vgprValuC+158]   // convert C to fp16
s_mul_i32 s32, s[sgprStrideD1J], 10                // scale StrideD *= numRows(5) * bpe
s_add_u32  s[sgprSrdD+0], s[sgprSrdD+0], s32       // incToNextRow: gra SRD += inc(lower)
s_addc_u32  s[sgprSrdD+1], s[sgprSrdD+1], 0        // incToNextRow: gra SRD += inc(upper)
_buffer_store_b16 v158, v102, s[sgprSrdD:sgprSrdD+3], 0, offen, offset:0,  glc slc // store D

s_waitcnt vmcnt(63)                                // wait C (interleaved) 71 = 72 - 25 + 25 - 1
v_fma_mix_f32 v[vgprValuC+160], s[sgprBeta], v159, v[vgprValuC+160], op_sel:[0,0,0] op_sel_hi:[0,1,0] // //C*=beta
v_cvt_f16_f32 v[vgprValuC+160], v[vgprValuC+160]   // convert C to fp16
_buffer_store_b16 v160, v102, s[sgprSrdD:sgprSrdD+3], 0, offen, offset:128,  glc slc // store D

s_waitcnt vmcnt(63)                                // wait C (interleaved) 71 = 72 - 26 + 26 - 1
v_fma_mix_f32 v[vgprValuC+162], s[sgprBeta], v161, v[vgprValuC+162], op_sel:[0,0,0] op_sel_hi:[0,1,0] // //C*=beta
v_cvt_f16_f32 v[vgprValuC+162], v[vgprValuC+162]   // convert C to fp16
s_lshl_b32  s32, s[sgprStrideD1J], 1               // incToNextRow: Scale by BPE
s_add_u32  s[sgprSrdD+0], s[sgprSrdD+0], s32       // incToNextRow: gra SRD += inc(lower)
s_addc_u32  s[sgprSrdD+1], s[sgprSrdD+1], 0        // incToNextRow: gra SRD += inc(upper)
_buffer_store_b16 v162, v102, s[sgprSrdD:sgprSrdD+3], 0, offen, offset:0,  glc slc // store D

s_waitcnt vmcnt(63)                                // wait C (interleaved) 71 = 72 - 27 + 27 - 1
v_fma_mix_f32 v[vgprValuC+164], s[sgprBeta], v163, v[vgprValuC+164], op_sel:[0,0,0] op_sel_hi:[0,1,0] // //C*=beta
v_cvt_f16_f32 v[vgprValuC+164], v[vgprValuC+164]   // convert C to fp16
_buffer_store_b16 v164, v102, s[sgprSrdD:sgprSrdD+3], 0, offen, offset:128,  glc slc // store D

s_waitcnt vmcnt(63)                                // wait C (interleaved) 71 = 72 - 28 + 28 - 1
v_fma_mix_f32 v[vgprValuC+166], s[sgprBeta], v165, v[vgprValuC+166], op_sel:[0,0,0] op_sel_hi:[0,1,0] // //C*=beta
v_cvt_f16_f32 v[vgprValuC+166], v[vgprValuC+166]   // convert C to fp16
s_lshl_b32  s32, s[sgprStrideD1J], 1               // incToNextRow: Scale by BPE
s_add_u32  s[sgprSrdD+0], s[sgprSrdD+0], s32       // incToNextRow: gra SRD += inc(lower)
s_addc_u32  s[sgprSrdD+1], s[sgprSrdD+1], 0        // incToNextRow: gra SRD += inc(upper)
_buffer_store_b16 v166, v102, s[sgprSrdD:sgprSrdD+3], 0, offen, offset:0,  glc slc // store D

s_waitcnt vmcnt(63)                                // wait C (interleaved) 71 = 72 - 29 + 29 - 1
v_fma_mix_f32 v[vgprValuC+168], s[sgprBeta], v167, v[vgprValuC+168], op_sel:[0,0,0] op_sel_hi:[0,1,0] // //C*=beta
v_cvt_f16_f32 v[vgprValuC+168], v[vgprValuC+168]   // convert C to fp16
_buffer_store_b16 v168, v102, s[sgprSrdD:sgprSrdD+3], 0, offen, offset:128,  glc slc // store D

s_waitcnt vmcnt(63)                                // wait C (interleaved) 71 = 72 - 30 + 30 - 1
v_fma_mix_f32 v[vgprValuC+170], s[sgprBeta], v169, v[vgprValuC+170], op_sel:[0,0,0] op_sel_hi:[0,1,0] // //C*=beta
v_cvt_f16_f32 v[vgprValuC+170], v[vgprValuC+170]   // convert C to fp16
s_lshl_b32  s32, s[sgprStrideD1J], 1               // incToNextRow: Scale by BPE
s_add_u32  s[sgprSrdD+0], s[sgprSrdD+0], s32       // incToNextRow: gra SRD += inc(lower)
s_addc_u32  s[sgprSrdD+1], s[sgprSrdD+1], 0        // incToNextRow: gra SRD += inc(upper)
_buffer_store_b16 v170, v102, s[sgprSrdD:sgprSrdD+3], 0, offen, offset:0,  glc slc // store D

s_waitcnt vmcnt(63)                                // wait C (interleaved) 71 = 72 - 31 + 31 - 1
v_fma_mix_f32 v[vgprValuC+172], s[sgprBeta], v171, v[vgprValuC+172], op_sel:[0,0,0] op_sel_hi:[0,1,0] // //C*=beta
v_cvt_f16_f32 v[vgprValuC+172], v[vgprValuC+172]   // convert C to fp16
_buffer_store_b16 v172, v102, s[sgprSrdD:sgprSrdD+3], 0, offen, offset:128,  glc slc // store D

s_waitcnt vmcnt(63)                                // wait C (interleaved) 71 = 72 - 32 + 32 - 1
v_fma_mix_f32 v[vgprValuC+174], s[sgprBeta], v173, v[vgprValuC+174], op_sel:[0,0,0] op_sel_hi:[0,1,0] // //C*=beta
v_cvt_f16_f32 v[vgprValuC+174], v[vgprValuC+174]   // convert C to fp16
s_mul_i32 s32, s[sgprStrideD1J], 74                // scale StrideD *= numRows(37) * bpe
s_add_u32  s[sgprSrdD+0], s[sgprSrdD+0], s32       // incToNextRow: gra SRD += inc(lower)
s_addc_u32  s[sgprSrdD+1], s[sgprSrdD+1], 0        // incToNextRow: gra SRD += inc(upper)
_buffer_store_b16 v174, v102, s[sgprSrdD:sgprSrdD+3], 0, offen, offset:0,  glc slc // store D

s_waitcnt vmcnt(63)                                // wait C (interleaved) 71 = 72 - 33 + 33 - 1
v_fma_mix_f32 v[vgprValuC+176], s[sgprBeta], v175, v[vgprValuC+176], op_sel:[0,0,0] op_sel_hi:[0,1,0] // //C*=beta
v_cvt_f16_f32 v[vgprValuC+176], v[vgprValuC+176]   // convert C to fp16
_buffer_store_b16 v176, v102, s[sgprSrdD:sgprSrdD+3], 0, offen, offset:128,  glc slc // store D

s_waitcnt vmcnt(63)                                // wait C (interleaved) 71 = 72 - 34 + 34 - 1
v_fma_mix_f32 v[vgprValuC+178], s[sgprBeta], v177, v[vgprValuC+178], op_sel:[0,0,0] op_sel_hi:[0,1,0] // //C*=beta
v_cvt_f16_f32 v[vgprValuC+178], v[vgprValuC+178]   // convert C to fp16
s_lshl_b32  s32, s[sgprStrideD1J], 1               // incToNextRow: Scale by BPE
s_add_u32  s[sgprSrdD+0], s[sgprSrdD+0], s32       // incToNextRow: gra SRD += inc(lower)
s_addc_u32  s[sgprSrdD+1], s[sgprSrdD+1], 0        // incToNextRow: gra SRD += inc(upper)
_buffer_store_b16 v178, v102, s[sgprSrdD:sgprSrdD+3], 0, offen, offset:0,  glc slc // store D

s_waitcnt vmcnt(63)                                // wait C (interleaved) 71 = 72 - 35 + 35 - 1
v_fma_mix_f32 v[vgprValuC+180], s[sgprBeta], v179, v[vgprValuC+180], op_sel:[0,0,0] op_sel_hi:[0,1,0] // //C*=beta
v_cvt_f16_f32 v[vgprValuC+180], v[vgprValuC+180]   // convert C to fp16
_buffer_store_b16 v180, v102, s[sgprSrdD:sgprSrdD+3], 0, offen, offset:128,  glc slc // store D

s_waitcnt vmcnt(63)                                // wait C (interleaved) 71 = 72 - 36 + 36 - 1
v_fma_mix_f32 v[vgprValuC+182], s[sgprBeta], v181, v[vgprValuC+182], op_sel:[0,0,0] op_sel_hi:[0,1,0] // //C*=beta
v_cvt_f16_f32 v[vgprValuC+182], v[vgprValuC+182]   // convert C to fp16
s_lshl_b32  s32, s[sgprStrideD1J], 1               // incToNextRow: Scale by BPE
s_add_u32  s[sgprSrdD+0], s[sgprSrdD+0], s32       // incToNextRow: gra SRD += inc(lower)
s_addc_u32  s[sgprSrdD+1], s[sgprSrdD+1], 0        // incToNextRow: gra SRD += inc(upper)
_buffer_store_b16 v182, v102, s[sgprSrdD:sgprSrdD+3], 0, offen, offset:0,  glc slc // store D

s_waitcnt vmcnt(63)                                // wait C (interleaved) 71 = 72 - 37 + 37 - 1
v_fma_mix_f32 v[vgprValuC+184], s[sgprBeta], v183, v[vgprValuC+184], op_sel:[0,0,0] op_sel_hi:[0,1,0] // //C*=beta
v_cvt_f16_f32 v[vgprValuC+184], v[vgprValuC+184]   // convert C to fp16
_buffer_store_b16 v184, v102, s[sgprSrdD:sgprSrdD+3], 0, offen, offset:128,  glc slc // store D

s_waitcnt vmcnt(63)                                // wait C (interleaved) 71 = 72 - 38 + 38 - 1
v_fma_mix_f32 v[vgprValuC+186], s[sgprBeta], v185, v[vgprValuC+186], op_sel:[0,0,0] op_sel_hi:[0,1,0] // //C*=beta
v_cvt_f16_f32 v[vgprValuC+186], v[vgprValuC+186]   // convert C to fp16
s_lshl_b32  s32, s[sgprStrideD1J], 1               // incToNextRow: Scale by BPE
s_add_u32  s[sgprSrdD+0], s[sgprSrdD+0], s32       // incToNextRow: gra SRD += inc(lower)
s_addc_u32  s[sgprSrdD+1], s[sgprSrdD+1], 0        // incToNextRow: gra SRD += inc(upper)
_buffer_store_b16 v186, v102, s[sgprSrdD:sgprSrdD+3], 0, offen, offset:0,  glc slc // store D

s_waitcnt vmcnt(63)                                // wait C (interleaved) 71 = 72 - 39 + 39 - 1
v_fma_mix_f32 v[vgprValuC+188], s[sgprBeta], v187, v[vgprValuC+188], op_sel:[0,0,0] op_sel_hi:[0,1,0] // //C*=beta
v_cvt_f16_f32 v[vgprValuC+188], v[vgprValuC+188]   // convert C to fp16
_buffer_store_b16 v188, v102, s[sgprSrdD:sgprSrdD+3], 0, offen, offset:128,  glc slc // store D

s_waitcnt vmcnt(63)                                // wait C (interleaved) 71 = 72 - 40 + 40 - 1
v_fma_mix_f32 v[vgprValuC+190], s[sgprBeta], v189, v[vgprValuC+190], op_sel:[0,0,0] op_sel_hi:[0,1,0] // //C*=beta
v_cvt_f16_f32 v[vgprValuC+190], v[vgprValuC+190]   // convert C to fp16
s_mul_i32 s32, s[sgprStrideD1J], 10                // scale StrideD *= numRows(5) * bpe
s_add_u32  s[sgprSrdD+0], s[sgprSrdD+0], s32       // incToNextRow: gra SRD += inc(lower)
s_addc_u32  s[sgprSrdD+1], s[sgprSrdD+1], 0        // incToNextRow: gra SRD += inc(upper)
_buffer_store_b16 v190, v102, s[sgprSrdD:sgprSrdD+3], 0, offen, offset:0,  glc slc // store D

s_waitcnt vmcnt(63)                                // wait C (interleaved) 71 = 72 - 41 + 41 - 1
v_fma_mix_f32 v[vgprValuC+192], s[sgprBeta], v191, v[vgprValuC+192], op_sel:[0,0,0] op_sel_hi:[0,1,0] // //C*=beta
v_cvt_f16_f32 v[vgprValuC+192], v[vgprValuC+192]   // convert C to fp16
_buffer_store_b16 v192, v102, s[sgprSrdD:sgprSrdD+3], 0, offen, offset:128,  glc slc // store D

s_waitcnt vmcnt(63)                                // wait C (interleaved) 71 = 72 - 42 + 42 - 1
v_fma_mix_f32 v[vgprValuC+194], s[sgprBeta], v193, v[vgprValuC+194], op_sel:[0,0,0] op_sel_hi:[0,1,0] // //C*=beta
v_cvt_f16_f32 v[vgprValuC+194], v[vgprValuC+194]   // convert C to fp16
s_lshl_b32  s32, s[sgprStrideD1J], 1               // incToNextRow: Scale by BPE
s_add_u32  s[sgprSrdD+0], s[sgprSrdD+0], s32       // incToNextRow: gra SRD += inc(lower)
s_addc_u32  s[sgprSrdD+1], s[sgprSrdD+1], 0        // incToNextRow: gra SRD += inc(upper)
_buffer_store_b16 v194, v102, s[sgprSrdD:sgprSrdD+3], 0, offen, offset:0,  glc slc // store D

s_waitcnt vmcnt(63)                                // wait C (interleaved) 71 = 72 - 43 + 43 - 1
v_fma_mix_f32 v[vgprValuC+196], s[sgprBeta], v195, v[vgprValuC+196], op_sel:[0,0,0] op_sel_hi:[0,1,0] // //C*=beta
v_cvt_f16_f32 v[vgprValuC+196], v[vgprValuC+196]   // convert C to fp16
_buffer_store_b16 v196, v102, s[sgprSrdD:sgprSrdD+3], 0, offen, offset:128,  glc slc // store D

s_waitcnt vmcnt(63)                                // wait C (interleaved) 71 = 72 - 44 + 44 - 1
v_fma_mix_f32 v[vgprValuC+198], s[sgprBeta], v197, v[vgprValuC+198], op_sel:[0,0,0] op_sel_hi:[0,1,0] // //C*=beta
v_cvt_f16_f32 v[vgprValuC+198], v[vgprValuC+198]   // convert C to fp16
s_lshl_b32  s32, s[sgprStrideD1J], 1               // incToNextRow: Scale by BPE
s_add_u32  s[sgprSrdD+0], s[sgprSrdD+0], s32       // incToNextRow: gra SRD += inc(lower)
s_addc_u32  s[sgprSrdD+1], s[sgprSrdD+1], 0        // incToNextRow: gra SRD += inc(upper)
_buffer_store_b16 v198, v102, s[sgprSrdD:sgprSrdD+3], 0, offen, offset:0,  glc slc // store D

s_waitcnt vmcnt(63)                                // wait C (interleaved) 71 = 72 - 45 + 45 - 1
v_fma_mix_f32 v[vgprValuC+200], s[sgprBeta], v199, v[vgprValuC+200], op_sel:[0,0,0] op_sel_hi:[0,1,0] // //C*=beta
v_cvt_f16_f32 v[vgprValuC+200], v[vgprValuC+200]   // convert C to fp16
_buffer_store_b16 v200, v102, s[sgprSrdD:sgprSrdD+3], 0, offen, offset:128,  glc slc // store D

s_waitcnt vmcnt(63)                                // wait C (interleaved) 71 = 72 - 46 + 46 - 1
v_fma_mix_f32 v[vgprValuC+202], s[sgprBeta], v201, v[vgprValuC+202], op_sel:[0,0,0] op_sel_hi:[0,1,0] // //C*=beta
v_cvt_f16_f32 v[vgprValuC+202], v[vgprValuC+202]   // convert C to fp16
s_lshl_b32  s32, s[sgprStrideD1J], 1               // incToNextRow: Scale by BPE
s_add_u32  s[sgprSrdD+0], s[sgprSrdD+0], s32       // incToNextRow: gra SRD += inc(lower)
s_addc_u32  s[sgprSrdD+1], s[sgprSrdD+1], 0        // incToNextRow: gra SRD += inc(upper)
_buffer_store_b16 v202, v102, s[sgprSrdD:sgprSrdD+3], 0, offen, offset:0,  glc slc // store D

s_waitcnt vmcnt(63)                                // wait C (interleaved) 71 = 72 - 47 + 47 - 1
v_fma_mix_f32 v[vgprValuC+204], s[sgprBeta], v203, v[vgprValuC+204], op_sel:[0,0,0] op_sel_hi:[0,1,0] // //C*=beta
v_cvt_f16_f32 v[vgprValuC+204], v[vgprValuC+204]   // convert C to fp16
_buffer_store_b16 v204, v102, s[sgprSrdD:sgprSrdD+3], 0, offen, offset:128,  glc slc // store D

s_waitcnt vmcnt(63)                                // wait C (interleaved) 71 = 72 - 48 + 48 - 1
v_fma_mix_f32 v[vgprValuC+206], s[sgprBeta], v205, v[vgprValuC+206], op_sel:[0,0,0] op_sel_hi:[0,1,0] // //C*=beta
v_cvt_f16_f32 v[vgprValuC+206], v[vgprValuC+206]   // convert C to fp16
s_mul_i32 s32, s[sgprStrideD1J], 10                // scale StrideD *= numRows(5) * bpe
s_add_u32  s[sgprSrdD+0], s[sgprSrdD+0], s32       // incToNextRow: gra SRD += inc(lower)
s_addc_u32  s[sgprSrdD+1], s[sgprSrdD+1], 0        // incToNextRow: gra SRD += inc(upper)
_buffer_store_b16 v206, v102, s[sgprSrdD:sgprSrdD+3], 0, offen, offset:0,  glc slc // store D

s_waitcnt vmcnt(63)                                // wait C (interleaved) 71 = 72 - 49 + 49 - 1
v_fma_mix_f32 v[vgprValuC+208], s[sgprBeta], v207, v[vgprValuC+208], op_sel:[0,0,0] op_sel_hi:[0,1,0] // //C*=beta
v_cvt_f16_f32 v[vgprValuC+208], v[vgprValuC+208]   // convert C to fp16
_buffer_store_b16 v208, v102, s[sgprSrdD:sgprSrdD+3], 0, offen, offset:128,  glc slc // store D

s_waitcnt vmcnt(63)                                // wait C (interleaved) 71 = 72 - 50 + 50 - 1
v_fma_mix_f32 v[vgprValuC+210], s[sgprBeta], v209, v[vgprValuC+210], op_sel:[0,0,0] op_sel_hi:[0,1,0] // //C*=beta
v_cvt_f16_f32 v[vgprValuC+210], v[vgprValuC+210]   // convert C to fp16
s_lshl_b32  s32, s[sgprStrideD1J], 1               // incToNextRow: Scale by BPE
s_add_u32  s[sgprSrdD+0], s[sgprSrdD+0], s32       // incToNextRow: gra SRD += inc(lower)
s_addc_u32  s[sgprSrdD+1], s[sgprSrdD+1], 0        // incToNextRow: gra SRD += inc(upper)
_buffer_store_b16 v210, v102, s[sgprSrdD:sgprSrdD+3], 0, offen, offset:0,  glc slc // store D

s_waitcnt vmcnt(63)                                // wait C (interleaved) 71 = 72 - 51 + 51 - 1
v_fma_mix_f32 v[vgprValuC+212], s[sgprBeta], v211, v[vgprValuC+212], op_sel:[0,0,0] op_sel_hi:[0,1,0] // //C*=beta
v_cvt_f16_f32 v[vgprValuC+212], v[vgprValuC+212]   // convert C to fp16
_buffer_store_b16 v212, v102, s[sgprSrdD:sgprSrdD+3], 0, offen, offset:128,  glc slc // store D

s_waitcnt vmcnt(63)                                // wait C (interleaved) 71 = 72 - 52 + 52 - 1
v_fma_mix_f32 v[vgprValuC+214], s[sgprBeta], v213, v[vgprValuC+214], op_sel:[0,0,0] op_sel_hi:[0,1,0] // //C*=beta
v_cvt_f16_f32 v[vgprValuC+214], v[vgprValuC+214]   // convert C to fp16
s_lshl_b32  s32, s[sgprStrideD1J], 1               // incToNextRow: Scale by BPE
s_add_u32  s[sgprSrdD+0], s[sgprSrdD+0], s32       // incToNextRow: gra SRD += inc(lower)
s_addc_u32  s[sgprSrdD+1], s[sgprSrdD+1], 0        // incToNextRow: gra SRD += inc(upper)
_buffer_store_b16 v214, v102, s[sgprSrdD:sgprSrdD+3], 0, offen, offset:0,  glc slc // store D

s_waitcnt vmcnt(63)                                // wait C (interleaved) 71 = 72 - 53 + 53 - 1
v_fma_mix_f32 v[vgprValuC+216], s[sgprBeta], v215, v[vgprValuC+216], op_sel:[0,0,0] op_sel_hi:[0,1,0] // //C*=beta
v_cvt_f16_f32 v[vgprValuC+216], v[vgprValuC+216]   // convert C to fp16
_buffer_store_b16 v216, v102, s[sgprSrdD:sgprSrdD+3], 0, offen, offset:128,  glc slc // store D

s_waitcnt vmcnt(63)                                // wait C (interleaved) 71 = 72 - 54 + 54 - 1
v_fma_mix_f32 v[vgprValuC+218], s[sgprBeta], v217, v[vgprValuC+218], op_sel:[0,0,0] op_sel_hi:[0,1,0] // //C*=beta
v_cvt_f16_f32 v[vgprValuC+218], v[vgprValuC+218]   // convert C to fp16
s_lshl_b32  s32, s[sgprStrideD1J], 1               // incToNextRow: Scale by BPE
s_add_u32  s[sgprSrdD+0], s[sgprSrdD+0], s32       // incToNextRow: gra SRD += inc(lower)
s_addc_u32  s[sgprSrdD+1], s[sgprSrdD+1], 0        // incToNextRow: gra SRD += inc(upper)
_buffer_store_b16 v218, v102, s[sgprSrdD:sgprSrdD+3], 0, offen, offset:0,  glc slc // store D

s_waitcnt vmcnt(63)                                // wait C (interleaved) 71 = 72 - 55 + 55 - 1
v_fma_mix_f32 v[vgprValuC+220], s[sgprBeta], v219, v[vgprValuC+220], op_sel:[0,0,0] op_sel_hi:[0,1,0] // //C*=beta
v_cvt_f16_f32 v[vgprValuC+220], v[vgprValuC+220]   // convert C to fp16
_buffer_store_b16 v220, v102, s[sgprSrdD:sgprSrdD+3], 0, offen, offset:128,  glc slc // store D

s_waitcnt vmcnt(63)                                // wait C (interleaved) 71 = 72 - 56 + 56 - 1
v_fma_mix_f32 v[vgprValuC+222], s[sgprBeta], v221, v[vgprValuC+222], op_sel:[0,0,0] op_sel_hi:[0,1,0] // //C*=beta
v_cvt_f16_f32 v[vgprValuC+222], v[vgprValuC+222]   // convert C to fp16
s_mul_i32 s32, s[sgprStrideD1J], 10                // scale StrideD *= numRows(5) * bpe
s_add_u32  s[sgprSrdD+0], s[sgprSrdD+0], s32       // incToNextRow: gra SRD += inc(lower)
s_addc_u32  s[sgprSrdD+1], s[sgprSrdD+1], 0        // incToNextRow: gra SRD += inc(upper)
_buffer_store_b16 v222, v102, s[sgprSrdD:sgprSrdD+3], 0, offen, offset:0,  glc slc // store D

s_waitcnt vmcnt(63)                                // wait C (interleaved) 71 = 72 - 57 + 57 - 1
v_fma_mix_f32 v[vgprValuC+224], s[sgprBeta], v223, v[vgprValuC+224], op_sel:[0,0,0] op_sel_hi:[0,1,0] // //C*=beta
v_cvt_f16_f32 v[vgprValuC+224], v[vgprValuC+224]   // convert C to fp16
_buffer_store_b16 v224, v102, s[sgprSrdD:sgprSrdD+3], 0, offen, offset:128,  glc slc // store D

s_waitcnt vmcnt(63)                                // wait C (interleaved) 71 = 72 - 58 + 58 - 1
v_fma_mix_f32 v[vgprValuC+226], s[sgprBeta], v225, v[vgprValuC+226], op_sel:[0,0,0] op_sel_hi:[0,1,0] // //C*=beta
v_cvt_f16_f32 v[vgprValuC+226], v[vgprValuC+226]   // convert C to fp16
s_lshl_b32  s32, s[sgprStrideD1J], 1               // incToNextRow: Scale by BPE
s_add_u32  s[sgprSrdD+0], s[sgprSrdD+0], s32       // incToNextRow: gra SRD += inc(lower)
s_addc_u32  s[sgprSrdD+1], s[sgprSrdD+1], 0        // incToNextRow: gra SRD += inc(upper)
_buffer_store_b16 v226, v102, s[sgprSrdD:sgprSrdD+3], 0, offen, offset:0,  glc slc // store D

s_waitcnt vmcnt(63)                                // wait C (interleaved) 71 = 72 - 59 + 59 - 1
v_fma_mix_f32 v[vgprValuC+228], s[sgprBeta], v227, v[vgprValuC+228], op_sel:[0,0,0] op_sel_hi:[0,1,0] // //C*=beta
v_cvt_f16_f32 v[vgprValuC+228], v[vgprValuC+228]   // convert C to fp16
_buffer_store_b16 v228, v102, s[sgprSrdD:sgprSrdD+3], 0, offen, offset:128,  glc slc // store D

s_waitcnt vmcnt(63)                                // wait C (interleaved) 71 = 72 - 60 + 60 - 1
v_fma_mix_f32 v[vgprValuC+230], s[sgprBeta], v229, v[vgprValuC+230], op_sel:[0,0,0] op_sel_hi:[0,1,0] // //C*=beta
v_cvt_f16_f32 v[vgprValuC+230], v[vgprValuC+230]   // convert C to fp16
s_lshl_b32  s32, s[sgprStrideD1J], 1               // incToNextRow: Scale by BPE
s_add_u32  s[sgprSrdD+0], s[sgprSrdD+0], s32       // incToNextRow: gra SRD += inc(lower)
s_addc_u32  s[sgprSrdD+1], s[sgprSrdD+1], 0        // incToNextRow: gra SRD += inc(upper)
_buffer_store_b16 v230, v102, s[sgprSrdD:sgprSrdD+3], 0, offen, offset:0,  glc slc // store D

s_waitcnt vmcnt(63)                                // wait C (interleaved) 71 = 72 - 61 + 61 - 1
v_fma_mix_f32 v[vgprValuC+232], s[sgprBeta], v231, v[vgprValuC+232], op_sel:[0,0,0] op_sel_hi:[0,1,0] // //C*=beta
v_cvt_f16_f32 v[vgprValuC+232], v[vgprValuC+232]   // convert C to fp16
_buffer_store_b16 v232, v102, s[sgprSrdD:sgprSrdD+3], 0, offen, offset:128,  glc slc // store D

s_waitcnt vmcnt(63)                                // wait C (interleaved) 71 = 72 - 62 + 62 - 1
v_fma_mix_f32 v[vgprValuC+234], s[sgprBeta], v233, v[vgprValuC+234], op_sel:[0,0,0] op_sel_hi:[0,1,0] // //C*=beta
v_cvt_f16_f32 v[vgprValuC+234], v[vgprValuC+234]   // convert C to fp16
s_lshl_b32  s32, s[sgprStrideD1J], 1               // incToNextRow: Scale by BPE
s_add_u32  s[sgprSrdD+0], s[sgprSrdD+0], s32       // incToNextRow: gra SRD += inc(lower)
s_addc_u32  s[sgprSrdD+1], s[sgprSrdD+1], 0        // incToNextRow: gra SRD += inc(upper)
_buffer_store_b16 v234, v102, s[sgprSrdD:sgprSrdD+3], 0, offen, offset:0,  glc slc // store D

s_waitcnt vmcnt(63)                                // wait C (interleaved) 71 = 72 - 63 + 63 - 1
v_fma_mix_f32 v[vgprValuC+236], s[sgprBeta], v235, v[vgprValuC+236], op_sel:[0,0,0] op_sel_hi:[0,1,0] // //C*=beta
v_cvt_f16_f32 v[vgprValuC+236], v[vgprValuC+236]   // convert C to fp16
_buffer_store_b16 v236, v102, s[sgprSrdD:sgprSrdD+3], 0, offen, offset:128,  glc slc // store D

s_waitcnt vmcnt(63)                                // wait C (interleaved) 71 = 72 - 64 + 64 - 1
v_fma_mix_f32 v[vgprValuC+238], s[sgprBeta], v237, v[vgprValuC+238], op_sel:[0,0,0] op_sel_hi:[0,1,0] // //C*=beta
v_cvt_f16_f32 v[vgprValuC+238], v[vgprValuC+238]   // convert C to fp16
s_mul_i32 s32, s[sgprStrideD1J], 74                // scale StrideD *= numRows(37) * bpe
s_add_u32  s[sgprSrdD+0], s[sgprSrdD+0], s32       // incToNextRow: gra SRD += inc(lower)
s_addc_u32  s[sgprSrdD+1], s[sgprSrdD+1], 0        // incToNextRow: gra SRD += inc(upper)
_buffer_store_b16 v238, v102, s[sgprSrdD:sgprSrdD+3], 0, offen, offset:0,  glc slc // store D

s_waitcnt vmcnt(63)                                // wait C (interleaved) 71 = 72 - 65 + 65 - 1
v_fma_mix_f32 v[vgprValuC+240], s[sgprBeta], v239, v[vgprValuC+240], op_sel:[0,0,0] op_sel_hi:[0,1,0] // //C*=beta
v_cvt_f16_f32 v[vgprValuC+240], v[vgprValuC+240]   // convert C to fp16
_buffer_store_b16 v240, v102, s[sgprSrdD:sgprSrdD+3], 0, offen, offset:128,  glc slc // store D

s_waitcnt vmcnt(63)                                // wait C (interleaved) 71 = 72 - 66 + 66 - 1
v_fma_mix_f32 v[vgprValuC+242], s[sgprBeta], v241, v[vgprValuC+242], op_sel:[0,0,0] op_sel_hi:[0,1,0] // //C*=beta
v_cvt_f16_f32 v[vgprValuC+242], v[vgprValuC+242]   // convert C to fp16
s_lshl_b32  s32, s[sgprStrideD1J], 1               // incToNextRow: Scale by BPE
s_add_u32  s[sgprSrdD+0], s[sgprSrdD+0], s32       // incToNextRow: gra SRD += inc(lower)
s_addc_u32  s[sgprSrdD+1], s[sgprSrdD+1], 0        // incToNextRow: gra SRD += inc(upper)
_buffer_store_b16 v242, v102, s[sgprSrdD:sgprSrdD+3], 0, offen, offset:0,  glc slc // store D

s_waitcnt vmcnt(63)                                // wait C (interleaved) 71 = 72 - 67 + 67 - 1
v_fma_mix_f32 v[vgprValuC+244], s[sgprBeta], v243, v[vgprValuC+244], op_sel:[0,0,0] op_sel_hi:[0,1,0] // //C*=beta
v_cvt_f16_f32 v[vgprValuC+244], v[vgprValuC+244]   // convert C to fp16
_buffer_store_b16 v244, v102, s[sgprSrdD:sgprSrdD+3], 0, offen, offset:128,  glc slc // store D

s_waitcnt vmcnt(63)                                // wait C (interleaved) 71 = 72 - 68 + 68 - 1
v_fma_mix_f32 v[vgprValuC+246], s[sgprBeta], v245, v[vgprValuC+246], op_sel:[0,0,0] op_sel_hi:[0,1,0] // //C*=beta
v_cvt_f16_f32 v[vgprValuC+246], v[vgprValuC+246]   // convert C to fp16
s_lshl_b32  s32, s[sgprStrideD1J], 1               // incToNextRow: Scale by BPE
s_add_u32  s[sgprSrdD+0], s[sgprSrdD+0], s32       // incToNextRow: gra SRD += inc(lower)
s_addc_u32  s[sgprSrdD+1], s[sgprSrdD+1], 0        // incToNextRow: gra SRD += inc(upper)
	;; [unrolled: 13-line block ×3, first 2 shown]
_buffer_store_b16 v250, v102, s[sgprSrdD:sgprSrdD+3], 0, offen, offset:0,  glc slc // store D

s_waitcnt vmcnt(63)                                // wait C (interleaved) 71 = 72 - 71 + 71 - 1
v_fma_mix_f32 v[vgprValuC+252], s[sgprBeta], v251, v[vgprValuC+252], op_sel:[0,0,0] op_sel_hi:[0,1,0] // //C*=beta
v_cvt_f16_f32 v[vgprValuC+252], v[vgprValuC+252]   // convert C to fp16
_buffer_store_b16 v252, v102, s[sgprSrdD:sgprSrdD+3], 0, offen, offset:128,  glc slc // store D
s_nop 0                                            // 1 wait state required when next inst writes vgprs held by previous dwordx4 store inst
/* optSingleColVgpr=1 optSharedColVgpr=0 optSGPRUsage=BufferLoad_Mask optSrdIncForRow=1 */

/******************************************/
/* Global Write Alpha Beta Batch #1 (d1,d0,vc1,vc0) = */
/*    (9,0,0,0:vw1); (9,1,0,0:vw1); (9,0,1,0:vw1); (9,1,1,0:vw1); (9,0,2,0:vw1); (9,1,2,0:vw1); (9,0,3,0:vw1); (9,1,3,0:vw1); (10,0,0,0:vw1); (10,1,0,0:vw1); (10,0,1,0:vw1); (10,1,1,0:vw1); (10,0,2,0:vw1); (10,1,2,0:vw1); (10,0,3,0:vw1); (10,1,3,0:vw1); (11,0,0,0:vw1); (11,1,0,0:vw1); (11,0,1,0:vw1); (11,1,1,0:vw1); (11,0,2,0:vw1); (11,1,2,0:vw1); (11,0,3,0:vw1); (11,1,3,0:vw1) */
/******************************************/

/* calc coords, apply mask, and issue loads (if necessary) */
/* (d1,vc1,d0,vc0)=(9,0,0,0) */
s_mul_i32 s32, s[sgprStrideC1J], 10                // scale StrideC *= numRows(5) * bpe
s_add_u32  s[sgprSrdC+0], s[sgprSrdC+0], s32       // incToNextRow: gra SRD += inc(lower)
s_addc_u32  s[sgprSrdC+1], s[sgprSrdC+1], 0        // incToNextRow: gra SRD += inc(upper)
_buffer_load_d16_b16 v104, v103, s[sgprSrdC:sgprSrdC+3], 0, offen offset:0,  glc slc // load C for beta calc
/* (d1,vc1,d0,vc0)=(9,0,1,0) */
_buffer_load_d16_b16 v106, v103, s[sgprSrdC:sgprSrdC+3], 0, offen offset:128,  glc slc // load C for beta calc
/* (d1,vc1,d0,vc0)=(9,1,0,0) */
s_lshl_b32  s32, s[sgprStrideC1J], 1               // incToNextRow: Scale by BPE
s_add_u32  s[sgprSrdC+0], s[sgprSrdC+0], s32       // incToNextRow: gra SRD += inc(lower)
s_addc_u32  s[sgprSrdC+1], s[sgprSrdC+1], 0        // incToNextRow: gra SRD += inc(upper)
_buffer_load_d16_b16 v108, v103, s[sgprSrdC:sgprSrdC+3], 0, offen offset:0,  glc slc // load C for beta calc
/* (d1,vc1,d0,vc0)=(9,1,1,0) */
_buffer_load_d16_b16 v110, v103, s[sgprSrdC:sgprSrdC+3], 0, offen offset:128,  glc slc // load C for beta calc
/* (d1,vc1,d0,vc0)=(9,2,0,0) */
s_lshl_b32  s32, s[sgprStrideC1J], 1               // incToNextRow: Scale by BPE
s_add_u32  s[sgprSrdC+0], s[sgprSrdC+0], s32       // incToNextRow: gra SRD += inc(lower)
s_addc_u32  s[sgprSrdC+1], s[sgprSrdC+1], 0        // incToNextRow: gra SRD += inc(upper)
_buffer_load_d16_b16 v112, v103, s[sgprSrdC:sgprSrdC+3], 0, offen offset:0,  glc slc // load C for beta calc
/* (d1,vc1,d0,vc0)=(9,2,1,0) */
_buffer_load_d16_b16 v114, v103, s[sgprSrdC:sgprSrdC+3], 0, offen offset:128,  glc slc // load C for beta calc
/* (d1,vc1,d0,vc0)=(9,3,0,0) */
s_lshl_b32  s32, s[sgprStrideC1J], 1               // incToNextRow: Scale by BPE
s_add_u32  s[sgprSrdC+0], s[sgprSrdC+0], s32       // incToNextRow: gra SRD += inc(lower)
s_addc_u32  s[sgprSrdC+1], s[sgprSrdC+1], 0        // incToNextRow: gra SRD += inc(upper)
_buffer_load_d16_b16 v116, v103, s[sgprSrdC:sgprSrdC+3], 0, offen offset:0,  glc slc // load C for beta calc
/* (d1,vc1,d0,vc0)=(9,3,1,0) */
_buffer_load_d16_b16 v118, v103, s[sgprSrdC:sgprSrdC+3], 0, offen offset:128,  glc slc // load C for beta calc
/* (d1,vc1,d0,vc0)=(10,0,0,0) */
s_mul_i32 s32, s[sgprStrideC1J], 10                // scale StrideC *= numRows(5) * bpe
s_add_u32  s[sgprSrdC+0], s[sgprSrdC+0], s32       // incToNextRow: gra SRD += inc(lower)
s_addc_u32  s[sgprSrdC+1], s[sgprSrdC+1], 0        // incToNextRow: gra SRD += inc(upper)
_buffer_load_d16_b16 v120, v103, s[sgprSrdC:sgprSrdC+3], 0, offen offset:0,  glc slc // load C for beta calc
/* (d1,vc1,d0,vc0)=(10,0,1,0) */
_buffer_load_d16_b16 v122, v103, s[sgprSrdC:sgprSrdC+3], 0, offen offset:128,  glc slc // load C for beta calc
/* (d1,vc1,d0,vc0)=(10,1,0,0) */
s_lshl_b32  s32, s[sgprStrideC1J], 1               // incToNextRow: Scale by BPE
s_add_u32  s[sgprSrdC+0], s[sgprSrdC+0], s32       // incToNextRow: gra SRD += inc(lower)
s_addc_u32  s[sgprSrdC+1], s[sgprSrdC+1], 0        // incToNextRow: gra SRD += inc(upper)
_buffer_load_d16_b16 v124, v103, s[sgprSrdC:sgprSrdC+3], 0, offen offset:0,  glc slc // load C for beta calc
/* (d1,vc1,d0,vc0)=(10,1,1,0) */
_buffer_load_d16_b16 v126, v103, s[sgprSrdC:sgprSrdC+3], 0, offen offset:128,  glc slc // load C for beta calc
/* (d1,vc1,d0,vc0)=(10,2,0,0) */
s_lshl_b32  s32, s[sgprStrideC1J], 1               // incToNextRow: Scale by BPE
s_add_u32  s[sgprSrdC+0], s[sgprSrdC+0], s32       // incToNextRow: gra SRD += inc(lower)
s_addc_u32  s[sgprSrdC+1], s[sgprSrdC+1], 0        // incToNextRow: gra SRD += inc(upper)
_buffer_load_d16_b16 v128, v103, s[sgprSrdC:sgprSrdC+3], 0, offen offset:0,  glc slc // load C for beta calc
/* (d1,vc1,d0,vc0)=(10,2,1,0) */
_buffer_load_d16_b16 v130, v103, s[sgprSrdC:sgprSrdC+3], 0, offen offset:128,  glc slc // load C for beta calc
/* (d1,vc1,d0,vc0)=(10,3,0,0) */
s_lshl_b32  s32, s[sgprStrideC1J], 1               // incToNextRow: Scale by BPE
s_add_u32  s[sgprSrdC+0], s[sgprSrdC+0], s32       // incToNextRow: gra SRD += inc(lower)
s_addc_u32  s[sgprSrdC+1], s[sgprSrdC+1], 0        // incToNextRow: gra SRD += inc(upper)
_buffer_load_d16_b16 v132, v103, s[sgprSrdC:sgprSrdC+3], 0, offen offset:0,  glc slc // load C for beta calc
/* (d1,vc1,d0,vc0)=(10,3,1,0) */
_buffer_load_d16_b16 v134, v103, s[sgprSrdC:sgprSrdC+3], 0, offen offset:128,  glc slc // load C for beta calc
	;; [unrolled: 28-line block ×3, first 2 shown]

/* rC *= alpha batchElements=[(9, 0, 0, 0), (9, 1, 0, 0), (9, 0, 1, 0), (9, 1, 1, 0), (9, 0, 2, 0), (9, 1, 2, 0), (9, 0, 3, 0), (9, 1, 3, 0), (10, 0, 0, 0), (10, 1, 0, 0), (10, 0, 1, 0), (10, 1, 1, 0), (10, 0, 2, 0), (10, 1, 2, 0), (10, 0, 3, 0), (10, 1, 3, 0), (11, 0, 0, 0), (11, 1, 0, 0), (11, 0, 1, 0), (11, 1, 1, 0), (11, 0, 2, 0), (11, 1, 2, 0), (11, 0, 3, 0), (11, 1, 3, 0)] */
v_mul_f32 v[vgprValuC+105], s[sgprAlpha], v[vgprValuC+68] // Multiply MI out reg with alpha
v_mul_f32 v[vgprValuC+107], s[sgprAlpha], v[vgprValuC+84] // Multiply MI out reg with alpha
	;; [unrolled: 1-line block ×24, first 2 shown]

/* apply mask, calc new C and issue writes */

s_waitcnt vmcnt(23)                                // wait C (interleaved) 23 = 24 - 0 + 0 - 1
v_fma_mix_f32 v[vgprValuC+105], s[sgprBeta], v104, v[vgprValuC+105], op_sel:[0,0,0] op_sel_hi:[0,1,0] // //C*=beta
v_cvt_f16_f32 v[vgprValuC+105], v[vgprValuC+105]   // convert C to fp16
s_mul_i32 s32, s[sgprStrideD1J], 10                // scale StrideD *= numRows(5) * bpe
s_add_u32  s[sgprSrdD+0], s[sgprSrdD+0], s32       // incToNextRow: gra SRD += inc(lower)
s_addc_u32  s[sgprSrdD+1], s[sgprSrdD+1], 0        // incToNextRow: gra SRD += inc(upper)
_buffer_store_b16 v105, v102, s[sgprSrdD:sgprSrdD+3], 0, offen, offset:0,  glc slc // store D

s_waitcnt vmcnt(23)                                // wait C (interleaved) 23 = 24 - 1 + 1 - 1
v_fma_mix_f32 v[vgprValuC+107], s[sgprBeta], v106, v[vgprValuC+107], op_sel:[0,0,0] op_sel_hi:[0,1,0] // //C*=beta
v_cvt_f16_f32 v[vgprValuC+107], v[vgprValuC+107]   // convert C to fp16
_buffer_store_b16 v107, v102, s[sgprSrdD:sgprSrdD+3], 0, offen, offset:128,  glc slc // store D

s_waitcnt vmcnt(23)                                // wait C (interleaved) 23 = 24 - 2 + 2 - 1
v_fma_mix_f32 v[vgprValuC+109], s[sgprBeta], v108, v[vgprValuC+109], op_sel:[0,0,0] op_sel_hi:[0,1,0] // //C*=beta
v_cvt_f16_f32 v[vgprValuC+109], v[vgprValuC+109]   // convert C to fp16
s_lshl_b32  s32, s[sgprStrideD1J], 1               // incToNextRow: Scale by BPE
s_add_u32  s[sgprSrdD+0], s[sgprSrdD+0], s32       // incToNextRow: gra SRD += inc(lower)
s_addc_u32  s[sgprSrdD+1], s[sgprSrdD+1], 0        // incToNextRow: gra SRD += inc(upper)
_buffer_store_b16 v109, v102, s[sgprSrdD:sgprSrdD+3], 0, offen, offset:0,  glc slc // store D

s_waitcnt vmcnt(23)                                // wait C (interleaved) 23 = 24 - 3 + 3 - 1
v_fma_mix_f32 v[vgprValuC+111], s[sgprBeta], v110, v[vgprValuC+111], op_sel:[0,0,0] op_sel_hi:[0,1,0] // //C*=beta
v_cvt_f16_f32 v[vgprValuC+111], v[vgprValuC+111]   // convert C to fp16
_buffer_store_b16 v111, v102, s[sgprSrdD:sgprSrdD+3], 0, offen, offset:128,  glc slc // store D

s_waitcnt vmcnt(23)                                // wait C (interleaved) 23 = 24 - 4 + 4 - 1
v_fma_mix_f32 v[vgprValuC+113], s[sgprBeta], v112, v[vgprValuC+113], op_sel:[0,0,0] op_sel_hi:[0,1,0] // //C*=beta
v_cvt_f16_f32 v[vgprValuC+113], v[vgprValuC+113]   // convert C to fp16
s_lshl_b32  s32, s[sgprStrideD1J], 1               // incToNextRow: Scale by BPE
s_add_u32  s[sgprSrdD+0], s[sgprSrdD+0], s32       // incToNextRow: gra SRD += inc(lower)
s_addc_u32  s[sgprSrdD+1], s[sgprSrdD+1], 0        // incToNextRow: gra SRD += inc(upper)
_buffer_store_b16 v113, v102, s[sgprSrdD:sgprSrdD+3], 0, offen, offset:0,  glc slc // store D

s_waitcnt vmcnt(23)                                // wait C (interleaved) 23 = 24 - 5 + 5 - 1
v_fma_mix_f32 v[vgprValuC+115], s[sgprBeta], v114, v[vgprValuC+115], op_sel:[0,0,0] op_sel_hi:[0,1,0] // //C*=beta
v_cvt_f16_f32 v[vgprValuC+115], v[vgprValuC+115]   // convert C to fp16
_buffer_store_b16 v115, v102, s[sgprSrdD:sgprSrdD+3], 0, offen, offset:128,  glc slc // store D

s_waitcnt vmcnt(23)                                // wait C (interleaved) 23 = 24 - 6 + 6 - 1
v_fma_mix_f32 v[vgprValuC+117], s[sgprBeta], v116, v[vgprValuC+117], op_sel:[0,0,0] op_sel_hi:[0,1,0] // //C*=beta
v_cvt_f16_f32 v[vgprValuC+117], v[vgprValuC+117]   // convert C to fp16
s_lshl_b32  s32, s[sgprStrideD1J], 1               // incToNextRow: Scale by BPE
s_add_u32  s[sgprSrdD+0], s[sgprSrdD+0], s32       // incToNextRow: gra SRD += inc(lower)
s_addc_u32  s[sgprSrdD+1], s[sgprSrdD+1], 0        // incToNextRow: gra SRD += inc(upper)
_buffer_store_b16 v117, v102, s[sgprSrdD:sgprSrdD+3], 0, offen, offset:0,  glc slc // store D

s_waitcnt vmcnt(23)                                // wait C (interleaved) 23 = 24 - 7 + 7 - 1
v_fma_mix_f32 v[vgprValuC+119], s[sgprBeta], v118, v[vgprValuC+119], op_sel:[0,0,0] op_sel_hi:[0,1,0] // //C*=beta
v_cvt_f16_f32 v[vgprValuC+119], v[vgprValuC+119]   // convert C to fp16
_buffer_store_b16 v119, v102, s[sgprSrdD:sgprSrdD+3], 0, offen, offset:128,  glc slc // store D

s_waitcnt vmcnt(23)                                // wait C (interleaved) 23 = 24 - 8 + 8 - 1
v_fma_mix_f32 v[vgprValuC+121], s[sgprBeta], v120, v[vgprValuC+121], op_sel:[0,0,0] op_sel_hi:[0,1,0] // //C*=beta
v_cvt_f16_f32 v[vgprValuC+121], v[vgprValuC+121]   // convert C to fp16
s_mul_i32 s32, s[sgprStrideD1J], 10                // scale StrideD *= numRows(5) * bpe
s_add_u32  s[sgprSrdD+0], s[sgprSrdD+0], s32       // incToNextRow: gra SRD += inc(lower)
s_addc_u32  s[sgprSrdD+1], s[sgprSrdD+1], 0        // incToNextRow: gra SRD += inc(upper)
_buffer_store_b16 v121, v102, s[sgprSrdD:sgprSrdD+3], 0, offen, offset:0,  glc slc // store D

s_waitcnt vmcnt(23)                                // wait C (interleaved) 23 = 24 - 9 + 9 - 1
v_fma_mix_f32 v[vgprValuC+123], s[sgprBeta], v122, v[vgprValuC+123], op_sel:[0,0,0] op_sel_hi:[0,1,0] // //C*=beta
v_cvt_f16_f32 v[vgprValuC+123], v[vgprValuC+123]   // convert C to fp16
_buffer_store_b16 v123, v102, s[sgprSrdD:sgprSrdD+3], 0, offen, offset:128,  glc slc // store D

s_waitcnt vmcnt(23)                                // wait C (interleaved) 23 = 24 - 10 + 10 - 1
v_fma_mix_f32 v[vgprValuC+125], s[sgprBeta], v124, v[vgprValuC+125], op_sel:[0,0,0] op_sel_hi:[0,1,0] // //C*=beta
v_cvt_f16_f32 v[vgprValuC+125], v[vgprValuC+125]   // convert C to fp16
s_lshl_b32  s32, s[sgprStrideD1J], 1               // incToNextRow: Scale by BPE
s_add_u32  s[sgprSrdD+0], s[sgprSrdD+0], s32       // incToNextRow: gra SRD += inc(lower)
s_addc_u32  s[sgprSrdD+1], s[sgprSrdD+1], 0        // incToNextRow: gra SRD += inc(upper)
_buffer_store_b16 v125, v102, s[sgprSrdD:sgprSrdD+3], 0, offen, offset:0,  glc slc // store D

s_waitcnt vmcnt(23)                                // wait C (interleaved) 23 = 24 - 11 + 11 - 1
v_fma_mix_f32 v[vgprValuC+127], s[sgprBeta], v126, v[vgprValuC+127], op_sel:[0,0,0] op_sel_hi:[0,1,0] // //C*=beta
v_cvt_f16_f32 v[vgprValuC+127], v[vgprValuC+127]   // convert C to fp16
_buffer_store_b16 v127, v102, s[sgprSrdD:sgprSrdD+3], 0, offen, offset:128,  glc slc // store D

s_waitcnt vmcnt(23)                                // wait C (interleaved) 23 = 24 - 12 + 12 - 1
v_fma_mix_f32 v[vgprValuC+129], s[sgprBeta], v128, v[vgprValuC+129], op_sel:[0,0,0] op_sel_hi:[0,1,0] // //C*=beta
v_cvt_f16_f32 v[vgprValuC+129], v[vgprValuC+129]   // convert C to fp16
s_lshl_b32  s32, s[sgprStrideD1J], 1               // incToNextRow: Scale by BPE
s_add_u32  s[sgprSrdD+0], s[sgprSrdD+0], s32       // incToNextRow: gra SRD += inc(lower)
s_addc_u32  s[sgprSrdD+1], s[sgprSrdD+1], 0        // incToNextRow: gra SRD += inc(upper)
_buffer_store_b16 v129, v102, s[sgprSrdD:sgprSrdD+3], 0, offen, offset:0,  glc slc // store D

s_waitcnt vmcnt(23)                                // wait C (interleaved) 23 = 24 - 13 + 13 - 1
v_fma_mix_f32 v[vgprValuC+131], s[sgprBeta], v130, v[vgprValuC+131], op_sel:[0,0,0] op_sel_hi:[0,1,0] // //C*=beta
v_cvt_f16_f32 v[vgprValuC+131], v[vgprValuC+131]   // convert C to fp16
_buffer_store_b16 v131, v102, s[sgprSrdD:sgprSrdD+3], 0, offen, offset:128,  glc slc // store D

s_waitcnt vmcnt(23)                                // wait C (interleaved) 23 = 24 - 14 + 14 - 1
v_fma_mix_f32 v[vgprValuC+133], s[sgprBeta], v132, v[vgprValuC+133], op_sel:[0,0,0] op_sel_hi:[0,1,0] // //C*=beta
v_cvt_f16_f32 v[vgprValuC+133], v[vgprValuC+133]   // convert C to fp16
s_lshl_b32  s32, s[sgprStrideD1J], 1               // incToNextRow: Scale by BPE
s_add_u32  s[sgprSrdD+0], s[sgprSrdD+0], s32       // incToNextRow: gra SRD += inc(lower)
s_addc_u32  s[sgprSrdD+1], s[sgprSrdD+1], 0        // incToNextRow: gra SRD += inc(upper)
_buffer_store_b16 v133, v102, s[sgprSrdD:sgprSrdD+3], 0, offen, offset:0,  glc slc // store D

s_waitcnt vmcnt(23)                                // wait C (interleaved) 23 = 24 - 15 + 15 - 1
v_fma_mix_f32 v[vgprValuC+135], s[sgprBeta], v134, v[vgprValuC+135], op_sel:[0,0,0] op_sel_hi:[0,1,0] // //C*=beta
v_cvt_f16_f32 v[vgprValuC+135], v[vgprValuC+135]   // convert C to fp16
_buffer_store_b16 v135, v102, s[sgprSrdD:sgprSrdD+3], 0, offen, offset:128,  glc slc // store D
	;; [unrolled: 52-line block ×3, first 2 shown]
s_nop 0                                            // 1 wait state required when next inst writes vgprs held by previous dwordx4 store inst
s_branch label_GW_End_284                          // jump to end
GW_B1_E1_283:

/* edge=1, allocate 6 sgpr. perBatchTmpS=4 perBatchMaskS=2 perElementMaskS=0 elementsPerBatch=48 */
/* optSingleColVgpr=0 optSharedColVgpr=0 optSGPRUsage=BufferLoad_Edge_Mask optSrdIncForRow=0 */

/******************************************/
/* Global Write Alpha Beta Edge Batch #0 (d1,d0,vc1,vc0) = */
/*    (0,0,0,0:vw1); (0,1,0,0:vw1); (0,0,1,0:vw1); (0,1,1,0:vw1); (0,0,2,0:vw1); (0,1,2,0:vw1); (0,0,3,0:vw1); (0,1,3,0:vw1); (1,0,0,0:vw1); (1,1,0,0:vw1); (1,0,1,0:vw1); (1,1,1,0:vw1); (1,0,2,0:vw1); (1,1,2,0:vw1); (1,0,3,0:vw1); (1,1,3,0:vw1); (2,0,0,0:vw1); (2,1,0,0:vw1); (2,0,1,0:vw1); (2,1,1,0:vw1); (2,0,2,0:vw1); (2,1,2,0:vw1); (2,0,3,0:vw1); (2,1,3,0:vw1); (3,0,0,0:vw1); (3,1,0,0:vw1); (3,0,1,0:vw1); (3,1,1,0:vw1); (3,0,2,0:vw1); (3,1,2,0:vw1); (3,0,3,0:vw1); (3,1,3,0:vw1); (4,0,0,0:vw1); (4,1,0,0:vw1); (4,0,1,0:vw1); (4,1,1,0:vw1); (4,0,2,0:vw1); (4,1,2,0:vw1); (4,0,3,0:vw1); (4,1,3,0:vw1); (5,0,0,0:vw1); (5,1,0,0:vw1); (5,0,1,0:vw1); (5,1,1,0:vw1); (5,0,2,0:vw1); (5,1,2,0:vw1); (5,0,3,0:vw1); (5,1,3,0:vw1) */
/******************************************/

/* calc coords, apply mask, and issue loads (if necessary) */
/* (d1,vc1,d0,vc0)=(0,0,0,0) */
v_cmp_lt_u32 s[52:53], v96, s[sgprSizeI]           // coord0 < size0
v_cmp_lt_u32 s[56:57], v97, s[sgprSizeJ]           // coord1 < size1
s_and_b64 s[56:57], s[52:53], s[56:57]             // in0 && in1
_v_add_lshl_u32 v102, v98, v96, 0x1                // scaleToBpe: accumulate d0 lower and *= bpe into Cin addr
v_cndmask_b32 v102, -1, v102, s[56:57]             // LDC clip if OOB. offset
_buffer_load_d16_b16 v103, v102, s[sgprSrdC:sgprSrdC+3], 0, offen offset:0,  glc slc // load C for beta calc
_v_add_lshl_u32 v102, v99, v96, 0x1                // scaleToBpe: accumulate d0 lower and *= bpe into Cin addr
v_cndmask_b32 v102, -1, v102, s[56:57]             // LDD clip if OOB. offset
/* (d1,vc1,d0,vc0)=(0,0,1,0) */
_v_add_co_u32 v100, vcc, v96, 64                   // coord0.1: coord0 += d0*sg0*VW + vc0
v_cmp_lt_u32 s[52:53], v100, s[sgprSizeI]          // coord0 < size0
v_cmp_lt_u32 s[56:57], v97, s[sgprSizeJ]           // coord1 < size1
s_and_b64 s[56:57], s[52:53], s[56:57]             // in0 && in1
_v_add_lshl_u32 v105, v98, v100, 0x1               // scaleToBpe: accumulate d0 lower and *= bpe into Cin addr
v_cndmask_b32 v105, -1, v105, s[56:57]             // LDC clip if OOB. offset
_buffer_load_d16_b16 v106, v105, s[sgprSrdC:sgprSrdC+3], 0, offen offset:0,  glc slc // load C for beta calc
_v_add_lshl_u32 v105, v99, v100, 0x1               // scaleToBpe: accumulate d0 lower and *= bpe into Cin addr
v_cndmask_b32 v105, -1, v105, s[56:57]             // LDD clip if OOB. offset
/* (d1,vc1,d0,vc0)=(0,1,0,0) */
_v_add_co_u32 v97, vcc, v97, 1                     // coord1.1: coord1Vgpr += d1*sg1*VW + vc1

/* Fix for UseInitialStridesCD, emitAddressSetupCode */
_v_add_u32 v98, v98, s[sgprStrideC1J]              // ROWINC- Move cinRowPtr to next row
_v_add_u32 v99, v99, s[sgprStrideD1J]              // Move coutRowPtr to next row
v_cmp_lt_u32 s[52:53], v96, s[sgprSizeI]           // coord0 < size0
v_cmp_lt_u32 s[56:57], v97, s[sgprSizeJ]           // coord1 < size1
s_and_b64 s[56:57], s[52:53], s[56:57]             // in0 && in1
_v_add_lshl_u32 v108, v98, v96, 0x1                // scaleToBpe: accumulate d0 lower and *= bpe into Cin addr
v_cndmask_b32 v108, -1, v108, s[56:57]             // LDC clip if OOB. offset
_buffer_load_d16_b16 v109, v108, s[sgprSrdC:sgprSrdC+3], 0, offen offset:0,  glc slc // load C for beta calc
_v_add_lshl_u32 v108, v99, v96, 0x1                // scaleToBpe: accumulate d0 lower and *= bpe into Cin addr
v_cndmask_b32 v108, -1, v108, s[56:57]             // LDD clip if OOB. offset
/* (d1,vc1,d0,vc0)=(0,1,1,0) */
_v_add_co_u32 v100, vcc, v96, 64                   // coord0.1: coord0 += d0*sg0*VW + vc0
v_cmp_lt_u32 s[52:53], v100, s[sgprSizeI]          // coord0 < size0
v_cmp_lt_u32 s[56:57], v97, s[sgprSizeJ]           // coord1 < size1
s_and_b64 s[56:57], s[52:53], s[56:57]             // in0 && in1
_v_add_lshl_u32 v111, v98, v100, 0x1               // scaleToBpe: accumulate d0 lower and *= bpe into Cin addr
v_cndmask_b32 v111, -1, v111, s[56:57]             // LDC clip if OOB. offset
_buffer_load_d16_b16 v112, v111, s[sgprSrdC:sgprSrdC+3], 0, offen offset:0,  glc slc // load C for beta calc
_v_add_lshl_u32 v111, v99, v100, 0x1               // scaleToBpe: accumulate d0 lower and *= bpe into Cin addr
v_cndmask_b32 v111, -1, v111, s[56:57]             // LDD clip if OOB. offset
/* (d1,vc1,d0,vc0)=(0,2,0,0) */
_v_add_co_u32 v97, vcc, v97, 1                     // coord1.1: coord1Vgpr += d1*sg1*VW + vc1

/* Fix for UseInitialStridesCD, emitAddressSetupCode */
_v_add_u32 v98, v98, s[sgprStrideC1J]              // ROWINC- Move cinRowPtr to next row
_v_add_u32 v99, v99, s[sgprStrideD1J]              // Move coutRowPtr to next row
	;; [unrolled: 24-line block ×3, first 2 shown]
v_cmp_lt_u32 s[52:53], v96, s[sgprSizeI]           // coord0 < size0
v_cmp_lt_u32 s[56:57], v97, s[sgprSizeJ]           // coord1 < size1
s_and_b64 s[56:57], s[52:53], s[56:57]             // in0 && in1
_v_add_lshl_u32 v120, v98, v96, 0x1                // scaleToBpe: accumulate d0 lower and *= bpe into Cin addr
v_cndmask_b32 v120, -1, v120, s[56:57]             // LDC clip if OOB. offset
_buffer_load_d16_b16 v121, v120, s[sgprSrdC:sgprSrdC+3], 0, offen offset:0,  glc slc // load C for beta calc
_v_add_lshl_u32 v120, v99, v96, 0x1                // scaleToBpe: accumulate d0 lower and *= bpe into Cin addr
v_cndmask_b32 v120, -1, v120, s[56:57]             // LDD clip if OOB. offset
/* (d1,vc1,d0,vc0)=(0,3,1,0) */
_v_add_co_u32 v100, vcc, v96, 64                   // coord0.1: coord0 += d0*sg0*VW + vc0
v_cmp_lt_u32 s[52:53], v100, s[sgprSizeI]          // coord0 < size0
v_cmp_lt_u32 s[56:57], v97, s[sgprSizeJ]           // coord1 < size1
s_and_b64 s[56:57], s[52:53], s[56:57]             // in0 && in1
_v_add_lshl_u32 v123, v98, v100, 0x1               // scaleToBpe: accumulate d0 lower and *= bpe into Cin addr
v_cndmask_b32 v123, -1, v123, s[56:57]             // LDC clip if OOB. offset
_buffer_load_d16_b16 v124, v123, s[sgprSrdC:sgprSrdC+3], 0, offen offset:0,  glc slc // load C for beta calc
_v_add_lshl_u32 v123, v99, v100, 0x1               // scaleToBpe: accumulate d0 lower and *= bpe into Cin addr
v_cndmask_b32 v123, -1, v123, s[56:57]             // LDD clip if OOB. offset
/* (d1,vc1,d0,vc0)=(1,0,0,0) */
_v_add_co_u32 v97, vcc, v97, 5                     // coord1.1: coord1Vgpr += d1*sg1*VW + vc1

/* Fix for UseInitialStridesCD, emitAddressSetupCode */
s_mul_i32 s52, s[sgprStrideC1J], 5                 // scale stride
_v_add_u32 v98, v98, s52                           // ROWINC- Move cinRowPtr to next row
s_mul_i32 s52, s[sgprStrideD1J], 5                 // scale stride
_v_add_u32 v99, v99, s52                           // Move coutRowPtr to next row
v_cmp_lt_u32 s[52:53], v96, s[sgprSizeI]           // coord0 < size0
v_cmp_lt_u32 s[56:57], v97, s[sgprSizeJ]           // coord1 < size1
s_and_b64 s[56:57], s[52:53], s[56:57]             // in0 && in1
_v_add_lshl_u32 v126, v98, v96, 0x1                // scaleToBpe: accumulate d0 lower and *= bpe into Cin addr
v_cndmask_b32 v126, -1, v126, s[56:57]             // LDC clip if OOB. offset
_buffer_load_d16_b16 v127, v126, s[sgprSrdC:sgprSrdC+3], 0, offen offset:0,  glc slc // load C for beta calc
_v_add_lshl_u32 v126, v99, v96, 0x1                // scaleToBpe: accumulate d0 lower and *= bpe into Cin addr
v_cndmask_b32 v126, -1, v126, s[56:57]             // LDD clip if OOB. offset
/* (d1,vc1,d0,vc0)=(1,0,1,0) */
_v_add_co_u32 v100, vcc, v96, 64                   // coord0.1: coord0 += d0*sg0*VW + vc0
v_cmp_lt_u32 s[52:53], v100, s[sgprSizeI]          // coord0 < size0
v_cmp_lt_u32 s[56:57], v97, s[sgprSizeJ]           // coord1 < size1
s_and_b64 s[56:57], s[52:53], s[56:57]             // in0 && in1
_v_add_lshl_u32 v129, v98, v100, 0x1               // scaleToBpe: accumulate d0 lower and *= bpe into Cin addr
v_cndmask_b32 v129, -1, v129, s[56:57]             // LDC clip if OOB. offset
_buffer_load_d16_b16 v130, v129, s[sgprSrdC:sgprSrdC+3], 0, offen offset:0,  glc slc // load C for beta calc
_v_add_lshl_u32 v129, v99, v100, 0x1               // scaleToBpe: accumulate d0 lower and *= bpe into Cin addr
v_cndmask_b32 v129, -1, v129, s[56:57]             // LDD clip if OOB. offset
/* (d1,vc1,d0,vc0)=(1,1,0,0) */
_v_add_co_u32 v97, vcc, v97, 1                     // coord1.1: coord1Vgpr += d1*sg1*VW + vc1

/* Fix for UseInitialStridesCD, emitAddressSetupCode */
_v_add_u32 v98, v98, s[sgprStrideC1J]              // ROWINC- Move cinRowPtr to next row
_v_add_u32 v99, v99, s[sgprStrideD1J]              // Move coutRowPtr to next row
v_cmp_lt_u32 s[52:53], v96, s[sgprSizeI]           // coord0 < size0
v_cmp_lt_u32 s[56:57], v97, s[sgprSizeJ]           // coord1 < size1
s_and_b64 s[56:57], s[52:53], s[56:57]             // in0 && in1
_v_add_lshl_u32 v132, v98, v96, 0x1                // scaleToBpe: accumulate d0 lower and *= bpe into Cin addr
v_cndmask_b32 v132, -1, v132, s[56:57]             // LDC clip if OOB. offset
_buffer_load_d16_b16 v133, v132, s[sgprSrdC:sgprSrdC+3], 0, offen offset:0,  glc slc // load C for beta calc
_v_add_lshl_u32 v132, v99, v96, 0x1                // scaleToBpe: accumulate d0 lower and *= bpe into Cin addr
v_cndmask_b32 v132, -1, v132, s[56:57]             // LDD clip if OOB. offset
/* (d1,vc1,d0,vc0)=(1,1,1,0) */
_v_add_co_u32 v100, vcc, v96, 64                   // coord0.1: coord0 += d0*sg0*VW + vc0
v_cmp_lt_u32 s[52:53], v100, s[sgprSizeI]          // coord0 < size0
v_cmp_lt_u32 s[56:57], v97, s[sgprSizeJ]           // coord1 < size1
s_and_b64 s[56:57], s[52:53], s[56:57]             // in0 && in1
_v_add_lshl_u32 v135, v98, v100, 0x1               // scaleToBpe: accumulate d0 lower and *= bpe into Cin addr
v_cndmask_b32 v135, -1, v135, s[56:57]             // LDC clip if OOB. offset
_buffer_load_d16_b16 v136, v135, s[sgprSrdC:sgprSrdC+3], 0, offen offset:0,  glc slc // load C for beta calc
_v_add_lshl_u32 v135, v99, v100, 0x1               // scaleToBpe: accumulate d0 lower and *= bpe into Cin addr
v_cndmask_b32 v135, -1, v135, s[56:57]             // LDD clip if OOB. offset
/* (d1,vc1,d0,vc0)=(1,2,0,0) */
_v_add_co_u32 v97, vcc, v97, 1                     // coord1.1: coord1Vgpr += d1*sg1*VW + vc1

/* Fix for UseInitialStridesCD, emitAddressSetupCode */
_v_add_u32 v98, v98, s[sgprStrideC1J]              // ROWINC- Move cinRowPtr to next row
_v_add_u32 v99, v99, s[sgprStrideD1J]              // Move coutRowPtr to next row
	;; [unrolled: 24-line block ×3, first 2 shown]
v_cmp_lt_u32 s[52:53], v96, s[sgprSizeI]           // coord0 < size0
v_cmp_lt_u32 s[56:57], v97, s[sgprSizeJ]           // coord1 < size1
s_and_b64 s[56:57], s[52:53], s[56:57]             // in0 && in1
_v_add_lshl_u32 v149, v98, v96, 0x1                // scaleToBpe: accumulate d0 lower and *= bpe into Cin addr
v_cndmask_b32 v149, -1, v149, s[56:57]             // LDC clip if OOB. offset
_buffer_load_d16_b16 v150, v149, s[sgprSrdC:sgprSrdC+3], 0, offen offset:0,  glc slc // load C for beta calc
_v_add_lshl_u32 v149, v99, v96, 0x1                // scaleToBpe: accumulate d0 lower and *= bpe into Cin addr
v_cndmask_b32 v149, -1, v149, s[56:57]             // LDD clip if OOB. offset
/* (d1,vc1,d0,vc0)=(1,3,1,0) */
_v_add_co_u32 v100, vcc, v96, 64                   // coord0.1: coord0 += d0*sg0*VW + vc0
v_cmp_lt_u32 s[52:53], v100, s[sgprSizeI]          // coord0 < size0
v_cmp_lt_u32 s[56:57], v97, s[sgprSizeJ]           // coord1 < size1
s_and_b64 s[56:57], s[52:53], s[56:57]             // in0 && in1
_v_add_lshl_u32 v152, v98, v100, 0x1               // scaleToBpe: accumulate d0 lower and *= bpe into Cin addr
v_cndmask_b32 v152, -1, v152, s[56:57]             // LDC clip if OOB. offset
_buffer_load_d16_b16 v153, v152, s[sgprSrdC:sgprSrdC+3], 0, offen offset:0,  glc slc // load C for beta calc
_v_add_lshl_u32 v152, v99, v100, 0x1               // scaleToBpe: accumulate d0 lower and *= bpe into Cin addr
v_cndmask_b32 v152, -1, v152, s[56:57]             // LDD clip if OOB. offset
/* (d1,vc1,d0,vc0)=(2,0,0,0) */
_v_add_co_u32 v97, vcc, v97, 5                     // coord1.1: coord1Vgpr += d1*sg1*VW + vc1

/* Fix for UseInitialStridesCD, emitAddressSetupCode */
s_mul_i32 s52, s[sgprStrideC1J], 5                 // scale stride
_v_add_u32 v98, v98, s52                           // ROWINC- Move cinRowPtr to next row
s_mul_i32 s52, s[sgprStrideD1J], 5                 // scale stride
_v_add_u32 v99, v99, s52                           // Move coutRowPtr to next row
v_cmp_lt_u32 s[52:53], v96, s[sgprSizeI]           // coord0 < size0
v_cmp_lt_u32 s[56:57], v97, s[sgprSizeJ]           // coord1 < size1
s_and_b64 s[56:57], s[52:53], s[56:57]             // in0 && in1
_v_add_lshl_u32 v155, v98, v96, 0x1                // scaleToBpe: accumulate d0 lower and *= bpe into Cin addr
v_cndmask_b32 v155, -1, v155, s[56:57]             // LDC clip if OOB. offset
_buffer_load_d16_b16 v156, v155, s[sgprSrdC:sgprSrdC+3], 0, offen offset:0,  glc slc // load C for beta calc
_v_add_lshl_u32 v155, v99, v96, 0x1                // scaleToBpe: accumulate d0 lower and *= bpe into Cin addr
v_cndmask_b32 v155, -1, v155, s[56:57]             // LDD clip if OOB. offset
/* (d1,vc1,d0,vc0)=(2,0,1,0) */
_v_add_co_u32 v100, vcc, v96, 64                   // coord0.1: coord0 += d0*sg0*VW + vc0
v_cmp_lt_u32 s[52:53], v100, s[sgprSizeI]          // coord0 < size0
v_cmp_lt_u32 s[56:57], v97, s[sgprSizeJ]           // coord1 < size1
s_and_b64 s[56:57], s[52:53], s[56:57]             // in0 && in1
_v_add_lshl_u32 v158, v98, v100, 0x1               // scaleToBpe: accumulate d0 lower and *= bpe into Cin addr
v_cndmask_b32 v158, -1, v158, s[56:57]             // LDC clip if OOB. offset
_buffer_load_d16_b16 v159, v158, s[sgprSrdC:sgprSrdC+3], 0, offen offset:0,  glc slc // load C for beta calc
_v_add_lshl_u32 v158, v99, v100, 0x1               // scaleToBpe: accumulate d0 lower and *= bpe into Cin addr
v_cndmask_b32 v158, -1, v158, s[56:57]             // LDD clip if OOB. offset
/* (d1,vc1,d0,vc0)=(2,1,0,0) */
_v_add_co_u32 v97, vcc, v97, 1                     // coord1.1: coord1Vgpr += d1*sg1*VW + vc1

/* Fix for UseInitialStridesCD, emitAddressSetupCode */
_v_add_u32 v98, v98, s[sgprStrideC1J]              // ROWINC- Move cinRowPtr to next row
_v_add_u32 v99, v99, s[sgprStrideD1J]              // Move coutRowPtr to next row
v_cmp_lt_u32 s[52:53], v96, s[sgprSizeI]           // coord0 < size0
v_cmp_lt_u32 s[56:57], v97, s[sgprSizeJ]           // coord1 < size1
s_and_b64 s[56:57], s[52:53], s[56:57]             // in0 && in1
_v_add_lshl_u32 v161, v98, v96, 0x1                // scaleToBpe: accumulate d0 lower and *= bpe into Cin addr
v_cndmask_b32 v161, -1, v161, s[56:57]             // LDC clip if OOB. offset
_buffer_load_d16_b16 v162, v161, s[sgprSrdC:sgprSrdC+3], 0, offen offset:0,  glc slc // load C for beta calc
_v_add_lshl_u32 v161, v99, v96, 0x1                // scaleToBpe: accumulate d0 lower and *= bpe into Cin addr
v_cndmask_b32 v161, -1, v161, s[56:57]             // LDD clip if OOB. offset
/* (d1,vc1,d0,vc0)=(2,1,1,0) */
_v_add_co_u32 v100, vcc, v96, 64                   // coord0.1: coord0 += d0*sg0*VW + vc0
v_cmp_lt_u32 s[52:53], v100, s[sgprSizeI]          // coord0 < size0
v_cmp_lt_u32 s[56:57], v97, s[sgprSizeJ]           // coord1 < size1
s_and_b64 s[56:57], s[52:53], s[56:57]             // in0 && in1
_v_add_lshl_u32 v164, v98, v100, 0x1               // scaleToBpe: accumulate d0 lower and *= bpe into Cin addr
v_cndmask_b32 v164, -1, v164, s[56:57]             // LDC clip if OOB. offset
_buffer_load_d16_b16 v165, v164, s[sgprSrdC:sgprSrdC+3], 0, offen offset:0,  glc slc // load C for beta calc
_v_add_lshl_u32 v164, v99, v100, 0x1               // scaleToBpe: accumulate d0 lower and *= bpe into Cin addr
v_cndmask_b32 v164, -1, v164, s[56:57]             // LDD clip if OOB. offset
/* (d1,vc1,d0,vc0)=(2,2,0,0) */
_v_add_co_u32 v97, vcc, v97, 1                     // coord1.1: coord1Vgpr += d1*sg1*VW + vc1

/* Fix for UseInitialStridesCD, emitAddressSetupCode */
_v_add_u32 v98, v98, s[sgprStrideC1J]              // ROWINC- Move cinRowPtr to next row
_v_add_u32 v99, v99, s[sgprStrideD1J]              // Move coutRowPtr to next row
	;; [unrolled: 24-line block ×3, first 2 shown]
v_cmp_lt_u32 s[52:53], v96, s[sgprSizeI]           // coord0 < size0
v_cmp_lt_u32 s[56:57], v97, s[sgprSizeJ]           // coord1 < size1
s_and_b64 s[56:57], s[52:53], s[56:57]             // in0 && in1
_v_add_lshl_u32 v173, v98, v96, 0x1                // scaleToBpe: accumulate d0 lower and *= bpe into Cin addr
v_cndmask_b32 v173, -1, v173, s[56:57]             // LDC clip if OOB. offset
_buffer_load_d16_b16 v174, v173, s[sgprSrdC:sgprSrdC+3], 0, offen offset:0,  glc slc // load C for beta calc
_v_add_lshl_u32 v173, v99, v96, 0x1                // scaleToBpe: accumulate d0 lower and *= bpe into Cin addr
v_cndmask_b32 v173, -1, v173, s[56:57]             // LDD clip if OOB. offset
/* (d1,vc1,d0,vc0)=(2,3,1,0) */
_v_add_co_u32 v100, vcc, v96, 64                   // coord0.1: coord0 += d0*sg0*VW + vc0
v_cmp_lt_u32 s[52:53], v100, s[sgprSizeI]          // coord0 < size0
v_cmp_lt_u32 s[56:57], v97, s[sgprSizeJ]           // coord1 < size1
s_and_b64 s[56:57], s[52:53], s[56:57]             // in0 && in1
_v_add_lshl_u32 v176, v98, v100, 0x1               // scaleToBpe: accumulate d0 lower and *= bpe into Cin addr
v_cndmask_b32 v176, -1, v176, s[56:57]             // LDC clip if OOB. offset
_buffer_load_d16_b16 v177, v176, s[sgprSrdC:sgprSrdC+3], 0, offen offset:0,  glc slc // load C for beta calc
_v_add_lshl_u32 v176, v99, v100, 0x1               // scaleToBpe: accumulate d0 lower and *= bpe into Cin addr
v_cndmask_b32 v176, -1, v176, s[56:57]             // LDD clip if OOB. offset
/* (d1,vc1,d0,vc0)=(3,0,0,0) */
_v_add_co_u32 v97, vcc, v97, 5                     // coord1.1: coord1Vgpr += d1*sg1*VW + vc1

/* Fix for UseInitialStridesCD, emitAddressSetupCode */
s_mul_i32 s52, s[sgprStrideC1J], 5                 // scale stride
_v_add_u32 v98, v98, s52                           // ROWINC- Move cinRowPtr to next row
s_mul_i32 s52, s[sgprStrideD1J], 5                 // scale stride
_v_add_u32 v99, v99, s52                           // Move coutRowPtr to next row
v_cmp_lt_u32 s[52:53], v96, s[sgprSizeI]           // coord0 < size0
v_cmp_lt_u32 s[56:57], v97, s[sgprSizeJ]           // coord1 < size1
s_and_b64 s[56:57], s[52:53], s[56:57]             // in0 && in1
_v_add_lshl_u32 v179, v98, v96, 0x1                // scaleToBpe: accumulate d0 lower and *= bpe into Cin addr
v_cndmask_b32 v179, -1, v179, s[56:57]             // LDC clip if OOB. offset
_buffer_load_d16_b16 v180, v179, s[sgprSrdC:sgprSrdC+3], 0, offen offset:0,  glc slc // load C for beta calc
_v_add_lshl_u32 v179, v99, v96, 0x1                // scaleToBpe: accumulate d0 lower and *= bpe into Cin addr
v_cndmask_b32 v179, -1, v179, s[56:57]             // LDD clip if OOB. offset
/* (d1,vc1,d0,vc0)=(3,0,1,0) */
_v_add_co_u32 v100, vcc, v96, 64                   // coord0.1: coord0 += d0*sg0*VW + vc0
v_cmp_lt_u32 s[52:53], v100, s[sgprSizeI]          // coord0 < size0
v_cmp_lt_u32 s[56:57], v97, s[sgprSizeJ]           // coord1 < size1
s_and_b64 s[56:57], s[52:53], s[56:57]             // in0 && in1
_v_add_lshl_u32 v182, v98, v100, 0x1               // scaleToBpe: accumulate d0 lower and *= bpe into Cin addr
v_cndmask_b32 v182, -1, v182, s[56:57]             // LDC clip if OOB. offset
_buffer_load_d16_b16 v183, v182, s[sgprSrdC:sgprSrdC+3], 0, offen offset:0,  glc slc // load C for beta calc
_v_add_lshl_u32 v182, v99, v100, 0x1               // scaleToBpe: accumulate d0 lower and *= bpe into Cin addr
v_cndmask_b32 v182, -1, v182, s[56:57]             // LDD clip if OOB. offset
/* (d1,vc1,d0,vc0)=(3,1,0,0) */
_v_add_co_u32 v97, vcc, v97, 1                     // coord1.1: coord1Vgpr += d1*sg1*VW + vc1

/* Fix for UseInitialStridesCD, emitAddressSetupCode */
_v_add_u32 v98, v98, s[sgprStrideC1J]              // ROWINC- Move cinRowPtr to next row
_v_add_u32 v99, v99, s[sgprStrideD1J]              // Move coutRowPtr to next row
v_cmp_lt_u32 s[52:53], v96, s[sgprSizeI]           // coord0 < size0
v_cmp_lt_u32 s[56:57], v97, s[sgprSizeJ]           // coord1 < size1
s_and_b64 s[56:57], s[52:53], s[56:57]             // in0 && in1
_v_add_lshl_u32 v185, v98, v96, 0x1                // scaleToBpe: accumulate d0 lower and *= bpe into Cin addr
v_cndmask_b32 v185, -1, v185, s[56:57]             // LDC clip if OOB. offset
_buffer_load_d16_b16 v186, v185, s[sgprSrdC:sgprSrdC+3], 0, offen offset:0,  glc slc // load C for beta calc
_v_add_lshl_u32 v185, v99, v96, 0x1                // scaleToBpe: accumulate d0 lower and *= bpe into Cin addr
v_cndmask_b32 v185, -1, v185, s[56:57]             // LDD clip if OOB. offset
/* (d1,vc1,d0,vc0)=(3,1,1,0) */
_v_add_co_u32 v100, vcc, v96, 64                   // coord0.1: coord0 += d0*sg0*VW + vc0
v_cmp_lt_u32 s[52:53], v100, s[sgprSizeI]          // coord0 < size0
v_cmp_lt_u32 s[56:57], v97, s[sgprSizeJ]           // coord1 < size1
s_and_b64 s[56:57], s[52:53], s[56:57]             // in0 && in1
_v_add_lshl_u32 v188, v98, v100, 0x1               // scaleToBpe: accumulate d0 lower and *= bpe into Cin addr
v_cndmask_b32 v188, -1, v188, s[56:57]             // LDC clip if OOB. offset
_buffer_load_d16_b16 v189, v188, s[sgprSrdC:sgprSrdC+3], 0, offen offset:0,  glc slc // load C for beta calc
_v_add_lshl_u32 v188, v99, v100, 0x1               // scaleToBpe: accumulate d0 lower and *= bpe into Cin addr
v_cndmask_b32 v188, -1, v188, s[56:57]             // LDD clip if OOB. offset
/* (d1,vc1,d0,vc0)=(3,2,0,0) */
_v_add_co_u32 v97, vcc, v97, 1                     // coord1.1: coord1Vgpr += d1*sg1*VW + vc1

/* Fix for UseInitialStridesCD, emitAddressSetupCode */
_v_add_u32 v98, v98, s[sgprStrideC1J]              // ROWINC- Move cinRowPtr to next row
_v_add_u32 v99, v99, s[sgprStrideD1J]              // Move coutRowPtr to next row
v_cmp_lt_u32 s[52:53], v96, s[sgprSizeI]           // coord0 < size0
v_cmp_lt_u32 s[56:57], v97, s[sgprSizeJ]           // coord1 < size1
s_and_b64 s[56:57], s[52:53], s[56:57]             // in0 && in1
_v_add_lshl_u32 v191, v98, v96, 0x1                // scaleToBpe: accumulate d0 lower and *= bpe into Cin addr
v_cndmask_b32 v191, -1, v191, s[56:57]             // LDC clip if OOB. offset
_buffer_load_d16_b16 v192, v191, s[sgprSrdC:sgprSrdC+3], 0, offen offset:0,  glc slc // load C for beta calc
_v_add_lshl_u32 v191, v99, v96, 0x1                // scaleToBpe: accumulate d0 lower and *= bpe into Cin addr
v_cndmask_b32 v191, -1, v191, s[56:57]             // LDD clip if OOB. offset
/* (d1,vc1,d0,vc0)=(3,2,1,0) */
_v_add_co_u32 v100, vcc, v96, 64                   // coord0.1: coord0 += d0*sg0*VW + vc0
v_cmp_lt_u32 s[52:53], v100, s[sgprSizeI]          // coord0 < size0
v_cmp_lt_u32 s[56:57], v97, s[sgprSizeJ]           // coord1 < size1
s_and_b64 s[56:57], s[52:53], s[56:57]             // in0 && in1
_v_add_lshl_u32 v194, v98, v100, 0x1               // scaleToBpe: accumulate d0 lower and *= bpe into Cin addr
v_cndmask_b32 v194, -1, v194, s[56:57]             // LDC clip if OOB. offset
_buffer_load_d16_b16 v195, v194, s[sgprSrdC:sgprSrdC+3], 0, offen offset:0,  glc slc // load C for beta calc
_v_add_lshl_u32 v194, v99, v100, 0x1               // scaleToBpe: accumulate d0 lower and *= bpe into Cin addr
v_cndmask_b32 v194, -1, v194, s[56:57]             // LDD clip if OOB. offset
/* (d1,vc1,d0,vc0)=(3,3,0,0) */
_v_add_co_u32 v97, vcc, v97, 1                     // coord1.1: coord1Vgpr += d1*sg1*VW + vc1

/* Fix for UseInitialStridesCD, emitAddressSetupCode */
_v_add_u32 v98, v98, s[sgprStrideC1J]              // ROWINC- Move cinRowPtr to next row
_v_add_u32 v99, v99, s[sgprStrideD1J]              // Move coutRowPtr to next row
v_cmp_lt_u32 s[52:53], v96, s[sgprSizeI]           // coord0 < size0
v_cmp_lt_u32 s[56:57], v97, s[sgprSizeJ]           // coord1 < size1
s_and_b64 s[56:57], s[52:53], s[56:57]             // in0 && in1
_v_add_lshl_u32 v197, v98, v96, 0x1                // scaleToBpe: accumulate d0 lower and *= bpe into Cin addr
v_cndmask_b32 v197, -1, v197, s[56:57]             // LDC clip if OOB. offset
_buffer_load_d16_b16 v198, v197, s[sgprSrdC:sgprSrdC+3], 0, offen offset:0,  glc slc // load C for beta calc
_v_add_lshl_u32 v197, v99, v96, 0x1                // scaleToBpe: accumulate d0 lower and *= bpe into Cin addr
v_cndmask_b32 v197, -1, v197, s[56:57]             // LDD clip if OOB. offset
/* (d1,vc1,d0,vc0)=(3,3,1,0) */
_v_add_co_u32 v100, vcc, v96, 64                   // coord0.1: coord0 += d0*sg0*VW + vc0
v_cmp_lt_u32 s[52:53], v100, s[sgprSizeI]          // coord0 < size0
v_cmp_lt_u32 s[56:57], v97, s[sgprSizeJ]           // coord1 < size1
s_and_b64 s[56:57], s[52:53], s[56:57]             // in0 && in1
_v_add_lshl_u32 v200, v98, v100, 0x1               // scaleToBpe: accumulate d0 lower and *= bpe into Cin addr
v_cndmask_b32 v200, -1, v200, s[56:57]             // LDC clip if OOB. offset
_buffer_load_d16_b16 v201, v200, s[sgprSrdC:sgprSrdC+3], 0, offen offset:0,  glc slc // load C for beta calc
_v_add_lshl_u32 v200, v99, v100, 0x1               // scaleToBpe: accumulate d0 lower and *= bpe into Cin addr
v_cndmask_b32 v200, -1, v200, s[56:57]             // LDD clip if OOB. offset
/* (d1,vc1,d0,vc0)=(4,0,0,0) */
_v_add_co_u32 v97, vcc, v97, 37                    // coord1.1: coord1Vgpr += d1*sg1*VW + vc1

/* Fix for UseInitialStridesCD, emitAddressSetupCode */
s_mul_i32 s52, s[sgprStrideC1J], 37                // scale stride
_v_add_u32 v98, v98, s52                           // ROWINC- Move cinRowPtr to next row
s_mul_i32 s52, s[sgprStrideD1J], 37                // scale stride
_v_add_u32 v99, v99, s52                           // Move coutRowPtr to next row
v_cmp_lt_u32 s[52:53], v96, s[sgprSizeI]           // coord0 < size0
v_cmp_lt_u32 s[56:57], v97, s[sgprSizeJ]           // coord1 < size1
s_and_b64 s[56:57], s[52:53], s[56:57]             // in0 && in1
_v_add_lshl_u32 v203, v98, v96, 0x1                // scaleToBpe: accumulate d0 lower and *= bpe into Cin addr
v_cndmask_b32 v203, -1, v203, s[56:57]             // LDC clip if OOB. offset
_buffer_load_d16_b16 v204, v203, s[sgprSrdC:sgprSrdC+3], 0, offen offset:0,  glc slc // load C for beta calc
_v_add_lshl_u32 v203, v99, v96, 0x1                // scaleToBpe: accumulate d0 lower and *= bpe into Cin addr
v_cndmask_b32 v203, -1, v203, s[56:57]             // LDD clip if OOB. offset
/* (d1,vc1,d0,vc0)=(4,0,1,0) */
_v_add_co_u32 v100, vcc, v96, 64                   // coord0.1: coord0 += d0*sg0*VW + vc0
v_cmp_lt_u32 s[52:53], v100, s[sgprSizeI]          // coord0 < size0
v_cmp_lt_u32 s[56:57], v97, s[sgprSizeJ]           // coord1 < size1
s_and_b64 s[56:57], s[52:53], s[56:57]             // in0 && in1
_v_add_lshl_u32 v206, v98, v100, 0x1               // scaleToBpe: accumulate d0 lower and *= bpe into Cin addr
v_cndmask_b32 v206, -1, v206, s[56:57]             // LDC clip if OOB. offset
_buffer_load_d16_b16 v207, v206, s[sgprSrdC:sgprSrdC+3], 0, offen offset:0,  glc slc // load C for beta calc
_v_add_lshl_u32 v206, v99, v100, 0x1               // scaleToBpe: accumulate d0 lower and *= bpe into Cin addr
v_cndmask_b32 v206, -1, v206, s[56:57]             // LDD clip if OOB. offset
/* (d1,vc1,d0,vc0)=(4,1,0,0) */
_v_add_co_u32 v97, vcc, v97, 1                     // coord1.1: coord1Vgpr += d1*sg1*VW + vc1

/* Fix for UseInitialStridesCD, emitAddressSetupCode */
_v_add_u32 v98, v98, s[sgprStrideC1J]              // ROWINC- Move cinRowPtr to next row
_v_add_u32 v99, v99, s[sgprStrideD1J]              // Move coutRowPtr to next row
v_cmp_lt_u32 s[52:53], v96, s[sgprSizeI]           // coord0 < size0
v_cmp_lt_u32 s[56:57], v97, s[sgprSizeJ]           // coord1 < size1
s_and_b64 s[56:57], s[52:53], s[56:57]             // in0 && in1
_v_add_lshl_u32 v209, v98, v96, 0x1                // scaleToBpe: accumulate d0 lower and *= bpe into Cin addr
v_cndmask_b32 v209, -1, v209, s[56:57]             // LDC clip if OOB. offset
_buffer_load_d16_b16 v210, v209, s[sgprSrdC:sgprSrdC+3], 0, offen offset:0,  glc slc // load C for beta calc
_v_add_lshl_u32 v209, v99, v96, 0x1                // scaleToBpe: accumulate d0 lower and *= bpe into Cin addr
v_cndmask_b32 v209, -1, v209, s[56:57]             // LDD clip if OOB. offset
/* (d1,vc1,d0,vc0)=(4,1,1,0) */
_v_add_co_u32 v100, vcc, v96, 64                   // coord0.1: coord0 += d0*sg0*VW + vc0
v_cmp_lt_u32 s[52:53], v100, s[sgprSizeI]          // coord0 < size0
v_cmp_lt_u32 s[56:57], v97, s[sgprSizeJ]           // coord1 < size1
s_and_b64 s[56:57], s[52:53], s[56:57]             // in0 && in1
_v_add_lshl_u32 v212, v98, v100, 0x1               // scaleToBpe: accumulate d0 lower and *= bpe into Cin addr
v_cndmask_b32 v212, -1, v212, s[56:57]             // LDC clip if OOB. offset
_buffer_load_d16_b16 v213, v212, s[sgprSrdC:sgprSrdC+3], 0, offen offset:0,  glc slc // load C for beta calc
_v_add_lshl_u32 v212, v99, v100, 0x1               // scaleToBpe: accumulate d0 lower and *= bpe into Cin addr
v_cndmask_b32 v212, -1, v212, s[56:57]             // LDD clip if OOB. offset
/* (d1,vc1,d0,vc0)=(4,2,0,0) */
_v_add_co_u32 v97, vcc, v97, 1                     // coord1.1: coord1Vgpr += d1*sg1*VW + vc1

/* Fix for UseInitialStridesCD, emitAddressSetupCode */
_v_add_u32 v98, v98, s[sgprStrideC1J]              // ROWINC- Move cinRowPtr to next row
_v_add_u32 v99, v99, s[sgprStrideD1J]              // Move coutRowPtr to next row
	;; [unrolled: 24-line block ×3, first 2 shown]
v_cmp_lt_u32 s[52:53], v96, s[sgprSizeI]           // coord0 < size0
v_cmp_lt_u32 s[56:57], v97, s[sgprSizeJ]           // coord1 < size1
s_and_b64 s[56:57], s[52:53], s[56:57]             // in0 && in1
_v_add_lshl_u32 v221, v98, v96, 0x1                // scaleToBpe: accumulate d0 lower and *= bpe into Cin addr
v_cndmask_b32 v221, -1, v221, s[56:57]             // LDC clip if OOB. offset
_buffer_load_d16_b16 v222, v221, s[sgprSrdC:sgprSrdC+3], 0, offen offset:0,  glc slc // load C for beta calc
_v_add_lshl_u32 v221, v99, v96, 0x1                // scaleToBpe: accumulate d0 lower and *= bpe into Cin addr
v_cndmask_b32 v221, -1, v221, s[56:57]             // LDD clip if OOB. offset
/* (d1,vc1,d0,vc0)=(4,3,1,0) */
_v_add_co_u32 v100, vcc, v96, 64                   // coord0.1: coord0 += d0*sg0*VW + vc0
v_cmp_lt_u32 s[52:53], v100, s[sgprSizeI]          // coord0 < size0
v_cmp_lt_u32 s[56:57], v97, s[sgprSizeJ]           // coord1 < size1
s_and_b64 s[56:57], s[52:53], s[56:57]             // in0 && in1
_v_add_lshl_u32 v224, v98, v100, 0x1               // scaleToBpe: accumulate d0 lower and *= bpe into Cin addr
v_cndmask_b32 v224, -1, v224, s[56:57]             // LDC clip if OOB. offset
_buffer_load_d16_b16 v225, v224, s[sgprSrdC:sgprSrdC+3], 0, offen offset:0,  glc slc // load C for beta calc
_v_add_lshl_u32 v224, v99, v100, 0x1               // scaleToBpe: accumulate d0 lower and *= bpe into Cin addr
v_cndmask_b32 v224, -1, v224, s[56:57]             // LDD clip if OOB. offset
/* (d1,vc1,d0,vc0)=(5,0,0,0) */
_v_add_co_u32 v97, vcc, v97, 5                     // coord1.1: coord1Vgpr += d1*sg1*VW + vc1

/* Fix for UseInitialStridesCD, emitAddressSetupCode */
s_mul_i32 s52, s[sgprStrideC1J], 5                 // scale stride
_v_add_u32 v98, v98, s52                           // ROWINC- Move cinRowPtr to next row
s_mul_i32 s52, s[sgprStrideD1J], 5                 // scale stride
_v_add_u32 v99, v99, s52                           // Move coutRowPtr to next row
v_cmp_lt_u32 s[52:53], v96, s[sgprSizeI]           // coord0 < size0
v_cmp_lt_u32 s[56:57], v97, s[sgprSizeJ]           // coord1 < size1
s_and_b64 s[56:57], s[52:53], s[56:57]             // in0 && in1
_v_add_lshl_u32 v227, v98, v96, 0x1                // scaleToBpe: accumulate d0 lower and *= bpe into Cin addr
v_cndmask_b32 v227, -1, v227, s[56:57]             // LDC clip if OOB. offset
_buffer_load_d16_b16 v228, v227, s[sgprSrdC:sgprSrdC+3], 0, offen offset:0,  glc slc // load C for beta calc
_v_add_lshl_u32 v227, v99, v96, 0x1                // scaleToBpe: accumulate d0 lower and *= bpe into Cin addr
v_cndmask_b32 v227, -1, v227, s[56:57]             // LDD clip if OOB. offset
/* (d1,vc1,d0,vc0)=(5,0,1,0) */
_v_add_co_u32 v100, vcc, v96, 64                   // coord0.1: coord0 += d0*sg0*VW + vc0
v_cmp_lt_u32 s[52:53], v100, s[sgprSizeI]          // coord0 < size0
v_cmp_lt_u32 s[56:57], v97, s[sgprSizeJ]           // coord1 < size1
s_and_b64 s[56:57], s[52:53], s[56:57]             // in0 && in1
_v_add_lshl_u32 v230, v98, v100, 0x1               // scaleToBpe: accumulate d0 lower and *= bpe into Cin addr
v_cndmask_b32 v230, -1, v230, s[56:57]             // LDC clip if OOB. offset
_buffer_load_d16_b16 v231, v230, s[sgprSrdC:sgprSrdC+3], 0, offen offset:0,  glc slc // load C for beta calc
_v_add_lshl_u32 v230, v99, v100, 0x1               // scaleToBpe: accumulate d0 lower and *= bpe into Cin addr
v_cndmask_b32 v230, -1, v230, s[56:57]             // LDD clip if OOB. offset
/* (d1,vc1,d0,vc0)=(5,1,0,0) */
_v_add_co_u32 v97, vcc, v97, 1                     // coord1.1: coord1Vgpr += d1*sg1*VW + vc1

/* Fix for UseInitialStridesCD, emitAddressSetupCode */
_v_add_u32 v98, v98, s[sgprStrideC1J]              // ROWINC- Move cinRowPtr to next row
_v_add_u32 v99, v99, s[sgprStrideD1J]              // Move coutRowPtr to next row
v_cmp_lt_u32 s[52:53], v96, s[sgprSizeI]           // coord0 < size0
v_cmp_lt_u32 s[56:57], v97, s[sgprSizeJ]           // coord1 < size1
s_and_b64 s[56:57], s[52:53], s[56:57]             // in0 && in1
_v_add_lshl_u32 v233, v98, v96, 0x1                // scaleToBpe: accumulate d0 lower and *= bpe into Cin addr
v_cndmask_b32 v233, -1, v233, s[56:57]             // LDC clip if OOB. offset
_buffer_load_d16_b16 v234, v233, s[sgprSrdC:sgprSrdC+3], 0, offen offset:0,  glc slc // load C for beta calc
_v_add_lshl_u32 v233, v99, v96, 0x1                // scaleToBpe: accumulate d0 lower and *= bpe into Cin addr
v_cndmask_b32 v233, -1, v233, s[56:57]             // LDD clip if OOB. offset
/* (d1,vc1,d0,vc0)=(5,1,1,0) */
_v_add_co_u32 v100, vcc, v96, 64                   // coord0.1: coord0 += d0*sg0*VW + vc0
v_cmp_lt_u32 s[52:53], v100, s[sgprSizeI]          // coord0 < size0
v_cmp_lt_u32 s[56:57], v97, s[sgprSizeJ]           // coord1 < size1
s_and_b64 s[56:57], s[52:53], s[56:57]             // in0 && in1
_v_add_lshl_u32 v236, v98, v100, 0x1               // scaleToBpe: accumulate d0 lower and *= bpe into Cin addr
v_cndmask_b32 v236, -1, v236, s[56:57]             // LDC clip if OOB. offset
_buffer_load_d16_b16 v237, v236, s[sgprSrdC:sgprSrdC+3], 0, offen offset:0,  glc slc // load C for beta calc
_v_add_lshl_u32 v236, v99, v100, 0x1               // scaleToBpe: accumulate d0 lower and *= bpe into Cin addr
v_cndmask_b32 v236, -1, v236, s[56:57]             // LDD clip if OOB. offset
/* (d1,vc1,d0,vc0)=(5,2,0,0) */
_v_add_co_u32 v97, vcc, v97, 1                     // coord1.1: coord1Vgpr += d1*sg1*VW + vc1

/* Fix for UseInitialStridesCD, emitAddressSetupCode */
_v_add_u32 v98, v98, s[sgprStrideC1J]              // ROWINC- Move cinRowPtr to next row
_v_add_u32 v99, v99, s[sgprStrideD1J]              // Move coutRowPtr to next row
	;; [unrolled: 24-line block ×3, first 2 shown]
v_cmp_lt_u32 s[52:53], v96, s[sgprSizeI]           // coord0 < size0
v_cmp_lt_u32 s[56:57], v97, s[sgprSizeJ]           // coord1 < size1
s_and_b64 s[56:57], s[52:53], s[56:57]             // in0 && in1
_v_add_lshl_u32 v245, v98, v96, 0x1                // scaleToBpe: accumulate d0 lower and *= bpe into Cin addr
v_cndmask_b32 v245, -1, v245, s[56:57]             // LDC clip if OOB. offset
_buffer_load_d16_b16 v246, v245, s[sgprSrdC:sgprSrdC+3], 0, offen offset:0,  glc slc // load C for beta calc
_v_add_lshl_u32 v245, v99, v96, 0x1                // scaleToBpe: accumulate d0 lower and *= bpe into Cin addr
v_cndmask_b32 v245, -1, v245, s[56:57]             // LDD clip if OOB. offset
/* (d1,vc1,d0,vc0)=(5,3,1,0) */
_v_add_co_u32 v100, vcc, v96, 64                   // coord0.1: coord0 += d0*sg0*VW + vc0
v_cmp_lt_u32 s[52:53], v100, s[sgprSizeI]          // coord0 < size0
v_cmp_lt_u32 s[56:57], v97, s[sgprSizeJ]           // coord1 < size1
s_and_b64 s[56:57], s[52:53], s[56:57]             // in0 && in1
_v_add_lshl_u32 v248, v98, v100, 0x1               // scaleToBpe: accumulate d0 lower and *= bpe into Cin addr
v_cndmask_b32 v248, -1, v248, s[56:57]             // LDC clip if OOB. offset
_buffer_load_d16_b16 v249, v248, s[sgprSrdC:sgprSrdC+3], 0, offen offset:0,  glc slc // load C for beta calc
_v_add_lshl_u32 v248, v99, v100, 0x1               // scaleToBpe: accumulate d0 lower and *= bpe into Cin addr
v_cndmask_b32 v248, -1, v248, s[56:57]             // LDD clip if OOB. offset

/* rC *= alpha batchElements=[(0, 0, 0, 0), (0, 1, 0, 0), (0, 0, 1, 0), (0, 1, 1, 0), (0, 0, 2, 0), (0, 1, 2, 0), (0, 0, 3, 0), (0, 1, 3, 0), (1, 0, 0, 0), (1, 1, 0, 0), (1, 0, 1, 0), (1, 1, 1, 0), (1, 0, 2, 0), (1, 1, 2, 0), (1, 0, 3, 0), (1, 1, 3, 0), (2, 0, 0, 0), (2, 1, 0, 0), (2, 0, 1, 0), (2, 1, 1, 0), (2, 0, 2, 0), (2, 1, 2, 0), (2, 0, 3, 0), (2, 1, 3, 0), (3, 0, 0, 0), (3, 1, 0, 0), (3, 0, 1, 0), (3, 1, 1, 0), (3, 0, 2, 0), (3, 1, 2, 0), (3, 0, 3, 0), (3, 1, 3, 0), (4, 0, 0, 0), (4, 1, 0, 0), (4, 0, 1, 0), (4, 1, 1, 0), (4, 0, 2, 0), (4, 1, 2, 0), (4, 0, 3, 0), (4, 1, 3, 0), (5, 0, 0, 0), (5, 1, 0, 0), (5, 0, 1, 0), (5, 1, 1, 0), (5, 0, 2, 0), (5, 1, 2, 0), (5, 0, 3, 0), (5, 1, 3, 0)] */
v_mul_f32 v[vgprValuC+104], s[sgprAlpha], v[vgprValuC+0] // Multiply MI out reg with alpha
v_mul_f32 v[vgprValuC+107], s[sgprAlpha], v[vgprValuC+16] // Multiply MI out reg with alpha
	;; [unrolled: 1-line block ×48, first 2 shown]
s_waitcnt vmcnt(0)                                 // wait C

/* apply mask, calc new C and issue writes */
v_fma_mix_f32 v[vgprValuC+104], s[sgprBeta], v103, v[vgprValuC+104], op_sel:[0,0,0] op_sel_hi:[0,1,0] // //C*=beta
v_cvt_f16_f32 v[vgprValuC+104], v[vgprValuC+104]   // convert C to fp16
_buffer_store_b16 v104, v102, s[sgprSrdD:sgprSrdD+3], 0, offen, offset:0,  glc slc // store D
v_fma_mix_f32 v[vgprValuC+107], s[sgprBeta], v106, v[vgprValuC+107], op_sel:[0,0,0] op_sel_hi:[0,1,0] // //C*=beta
v_cvt_f16_f32 v[vgprValuC+107], v[vgprValuC+107]   // convert C to fp16
_buffer_store_b16 v107, v105, s[sgprSrdD:sgprSrdD+3], 0, offen, offset:0,  glc slc // store D
v_fma_mix_f32 v[vgprValuC+110], s[sgprBeta], v109, v[vgprValuC+110], op_sel:[0,0,0] op_sel_hi:[0,1,0] // //C*=beta
v_cvt_f16_f32 v[vgprValuC+110], v[vgprValuC+110]   // convert C to fp16
_buffer_store_b16 v110, v108, s[sgprSrdD:sgprSrdD+3], 0, offen, offset:0,  glc slc // store D
v_fma_mix_f32 v[vgprValuC+113], s[sgprBeta], v112, v[vgprValuC+113], op_sel:[0,0,0] op_sel_hi:[0,1,0] // //C*=beta
v_cvt_f16_f32 v[vgprValuC+113], v[vgprValuC+113]   // convert C to fp16
_buffer_store_b16 v113, v111, s[sgprSrdD:sgprSrdD+3], 0, offen, offset:0,  glc slc // store D
v_fma_mix_f32 v[vgprValuC+116], s[sgprBeta], v115, v[vgprValuC+116], op_sel:[0,0,0] op_sel_hi:[0,1,0] // //C*=beta
v_cvt_f16_f32 v[vgprValuC+116], v[vgprValuC+116]   // convert C to fp16
_buffer_store_b16 v116, v114, s[sgprSrdD:sgprSrdD+3], 0, offen, offset:0,  glc slc // store D
v_fma_mix_f32 v[vgprValuC+119], s[sgprBeta], v118, v[vgprValuC+119], op_sel:[0,0,0] op_sel_hi:[0,1,0] // //C*=beta
v_cvt_f16_f32 v[vgprValuC+119], v[vgprValuC+119]   // convert C to fp16
_buffer_store_b16 v119, v117, s[sgprSrdD:sgprSrdD+3], 0, offen, offset:0,  glc slc // store D
v_fma_mix_f32 v[vgprValuC+122], s[sgprBeta], v121, v[vgprValuC+122], op_sel:[0,0,0] op_sel_hi:[0,1,0] // //C*=beta
v_cvt_f16_f32 v[vgprValuC+122], v[vgprValuC+122]   // convert C to fp16
_buffer_store_b16 v122, v120, s[sgprSrdD:sgprSrdD+3], 0, offen, offset:0,  glc slc // store D
v_fma_mix_f32 v[vgprValuC+125], s[sgprBeta], v124, v[vgprValuC+125], op_sel:[0,0,0] op_sel_hi:[0,1,0] // //C*=beta
v_cvt_f16_f32 v[vgprValuC+125], v[vgprValuC+125]   // convert C to fp16
_buffer_store_b16 v125, v123, s[sgprSrdD:sgprSrdD+3], 0, offen, offset:0,  glc slc // store D
v_fma_mix_f32 v[vgprValuC+128], s[sgprBeta], v127, v[vgprValuC+128], op_sel:[0,0,0] op_sel_hi:[0,1,0] // //C*=beta
v_cvt_f16_f32 v[vgprValuC+128], v[vgprValuC+128]   // convert C to fp16
_buffer_store_b16 v128, v126, s[sgprSrdD:sgprSrdD+3], 0, offen, offset:0,  glc slc // store D
v_fma_mix_f32 v[vgprValuC+131], s[sgprBeta], v130, v[vgprValuC+131], op_sel:[0,0,0] op_sel_hi:[0,1,0] // //C*=beta
v_cvt_f16_f32 v[vgprValuC+131], v[vgprValuC+131]   // convert C to fp16
_buffer_store_b16 v131, v129, s[sgprSrdD:sgprSrdD+3], 0, offen, offset:0,  glc slc // store D
v_fma_mix_f32 v[vgprValuC+134], s[sgprBeta], v133, v[vgprValuC+134], op_sel:[0,0,0] op_sel_hi:[0,1,0] // //C*=beta
v_cvt_f16_f32 v[vgprValuC+134], v[vgprValuC+134]   // convert C to fp16
_buffer_store_b16 v134, v132, s[sgprSrdD:sgprSrdD+3], 0, offen, offset:0,  glc slc // store D
v_fma_mix_f32 v[vgprValuC+137], s[sgprBeta], v136, v[vgprValuC+137], op_sel:[0,0,0] op_sel_hi:[0,1,0] // //C*=beta
v_cvt_f16_f32 v[vgprValuC+137], v[vgprValuC+137]   // convert C to fp16
_buffer_store_b16 v137, v135, s[sgprSrdD:sgprSrdD+3], 0, offen, offset:0,  glc slc // store D
v_fma_mix_f32 v[vgprValuC+140], s[sgprBeta], v139, v[vgprValuC+140], op_sel:[0,0,0] op_sel_hi:[0,1,0] // //C*=beta
v_cvt_f16_f32 v[vgprValuC+140], v[vgprValuC+140]   // convert C to fp16
_buffer_store_b16 v140, v138, s[sgprSrdD:sgprSrdD+3], 0, offen, offset:0,  glc slc // store D
v_fma_mix_f32 v[vgprValuC+143], s[sgprBeta], v142, v[vgprValuC+143], op_sel:[0,0,0] op_sel_hi:[0,1,0] // //C*=beta
v_cvt_f16_f32 v[vgprValuC+143], v[vgprValuC+143]   // convert C to fp16
_buffer_store_b16 v143, v141, s[sgprSrdD:sgprSrdD+3], 0, offen, offset:0,  glc slc // store D
v_fma_mix_f32 v[vgprValuC+151], s[sgprBeta], v150, v[vgprValuC+151], op_sel:[0,0,0] op_sel_hi:[0,1,0] // //C*=beta
v_cvt_f16_f32 v[vgprValuC+151], v[vgprValuC+151]   // convert C to fp16
_buffer_store_b16 v151, v149, s[sgprSrdD:sgprSrdD+3], 0, offen, offset:0,  glc slc // store D
v_fma_mix_f32 v[vgprValuC+154], s[sgprBeta], v153, v[vgprValuC+154], op_sel:[0,0,0] op_sel_hi:[0,1,0] // //C*=beta
v_cvt_f16_f32 v[vgprValuC+154], v[vgprValuC+154]   // convert C to fp16
_buffer_store_b16 v154, v152, s[sgprSrdD:sgprSrdD+3], 0, offen, offset:0,  glc slc // store D
v_fma_mix_f32 v[vgprValuC+157], s[sgprBeta], v156, v[vgprValuC+157], op_sel:[0,0,0] op_sel_hi:[0,1,0] // //C*=beta
v_cvt_f16_f32 v[vgprValuC+157], v[vgprValuC+157]   // convert C to fp16
_buffer_store_b16 v157, v155, s[sgprSrdD:sgprSrdD+3], 0, offen, offset:0,  glc slc // store D
v_fma_mix_f32 v[vgprValuC+160], s[sgprBeta], v159, v[vgprValuC+160], op_sel:[0,0,0] op_sel_hi:[0,1,0] // //C*=beta
v_cvt_f16_f32 v[vgprValuC+160], v[vgprValuC+160]   // convert C to fp16
_buffer_store_b16 v160, v158, s[sgprSrdD:sgprSrdD+3], 0, offen, offset:0,  glc slc // store D
v_fma_mix_f32 v[vgprValuC+163], s[sgprBeta], v162, v[vgprValuC+163], op_sel:[0,0,0] op_sel_hi:[0,1,0] // //C*=beta
v_cvt_f16_f32 v[vgprValuC+163], v[vgprValuC+163]   // convert C to fp16
_buffer_store_b16 v163, v161, s[sgprSrdD:sgprSrdD+3], 0, offen, offset:0,  glc slc // store D
v_fma_mix_f32 v[vgprValuC+166], s[sgprBeta], v165, v[vgprValuC+166], op_sel:[0,0,0] op_sel_hi:[0,1,0] // //C*=beta
v_cvt_f16_f32 v[vgprValuC+166], v[vgprValuC+166]   // convert C to fp16
_buffer_store_b16 v166, v164, s[sgprSrdD:sgprSrdD+3], 0, offen, offset:0,  glc slc // store D
v_fma_mix_f32 v[vgprValuC+169], s[sgprBeta], v168, v[vgprValuC+169], op_sel:[0,0,0] op_sel_hi:[0,1,0] // //C*=beta
v_cvt_f16_f32 v[vgprValuC+169], v[vgprValuC+169]   // convert C to fp16
_buffer_store_b16 v169, v167, s[sgprSrdD:sgprSrdD+3], 0, offen, offset:0,  glc slc // store D
v_fma_mix_f32 v[vgprValuC+172], s[sgprBeta], v171, v[vgprValuC+172], op_sel:[0,0,0] op_sel_hi:[0,1,0] // //C*=beta
v_cvt_f16_f32 v[vgprValuC+172], v[vgprValuC+172]   // convert C to fp16
_buffer_store_b16 v172, v170, s[sgprSrdD:sgprSrdD+3], 0, offen, offset:0,  glc slc // store D
v_fma_mix_f32 v[vgprValuC+175], s[sgprBeta], v174, v[vgprValuC+175], op_sel:[0,0,0] op_sel_hi:[0,1,0] // //C*=beta
v_cvt_f16_f32 v[vgprValuC+175], v[vgprValuC+175]   // convert C to fp16
_buffer_store_b16 v175, v173, s[sgprSrdD:sgprSrdD+3], 0, offen, offset:0,  glc slc // store D
v_fma_mix_f32 v[vgprValuC+178], s[sgprBeta], v177, v[vgprValuC+178], op_sel:[0,0,0] op_sel_hi:[0,1,0] // //C*=beta
v_cvt_f16_f32 v[vgprValuC+178], v[vgprValuC+178]   // convert C to fp16
_buffer_store_b16 v178, v176, s[sgprSrdD:sgprSrdD+3], 0, offen, offset:0,  glc slc // store D
v_fma_mix_f32 v[vgprValuC+181], s[sgprBeta], v180, v[vgprValuC+181], op_sel:[0,0,0] op_sel_hi:[0,1,0] // //C*=beta
v_cvt_f16_f32 v[vgprValuC+181], v[vgprValuC+181]   // convert C to fp16
_buffer_store_b16 v181, v179, s[sgprSrdD:sgprSrdD+3], 0, offen, offset:0,  glc slc // store D
v_fma_mix_f32 v[vgprValuC+184], s[sgprBeta], v183, v[vgprValuC+184], op_sel:[0,0,0] op_sel_hi:[0,1,0] // //C*=beta
v_cvt_f16_f32 v[vgprValuC+184], v[vgprValuC+184]   // convert C to fp16
_buffer_store_b16 v184, v182, s[sgprSrdD:sgprSrdD+3], 0, offen, offset:0,  glc slc // store D
v_fma_mix_f32 v[vgprValuC+187], s[sgprBeta], v186, v[vgprValuC+187], op_sel:[0,0,0] op_sel_hi:[0,1,0] // //C*=beta
v_cvt_f16_f32 v[vgprValuC+187], v[vgprValuC+187]   // convert C to fp16
_buffer_store_b16 v187, v185, s[sgprSrdD:sgprSrdD+3], 0, offen, offset:0,  glc slc // store D
v_fma_mix_f32 v[vgprValuC+190], s[sgprBeta], v189, v[vgprValuC+190], op_sel:[0,0,0] op_sel_hi:[0,1,0] // //C*=beta
v_cvt_f16_f32 v[vgprValuC+190], v[vgprValuC+190]   // convert C to fp16
_buffer_store_b16 v190, v188, s[sgprSrdD:sgprSrdD+3], 0, offen, offset:0,  glc slc // store D
v_fma_mix_f32 v[vgprValuC+193], s[sgprBeta], v192, v[vgprValuC+193], op_sel:[0,0,0] op_sel_hi:[0,1,0] // //C*=beta
v_cvt_f16_f32 v[vgprValuC+193], v[vgprValuC+193]   // convert C to fp16
_buffer_store_b16 v193, v191, s[sgprSrdD:sgprSrdD+3], 0, offen, offset:0,  glc slc // store D
v_fma_mix_f32 v[vgprValuC+196], s[sgprBeta], v195, v[vgprValuC+196], op_sel:[0,0,0] op_sel_hi:[0,1,0] // //C*=beta
v_cvt_f16_f32 v[vgprValuC+196], v[vgprValuC+196]   // convert C to fp16
_buffer_store_b16 v196, v194, s[sgprSrdD:sgprSrdD+3], 0, offen, offset:0,  glc slc // store D
v_fma_mix_f32 v[vgprValuC+199], s[sgprBeta], v198, v[vgprValuC+199], op_sel:[0,0,0] op_sel_hi:[0,1,0] // //C*=beta
v_cvt_f16_f32 v[vgprValuC+199], v[vgprValuC+199]   // convert C to fp16
_buffer_store_b16 v199, v197, s[sgprSrdD:sgprSrdD+3], 0, offen, offset:0,  glc slc // store D
v_fma_mix_f32 v[vgprValuC+202], s[sgprBeta], v201, v[vgprValuC+202], op_sel:[0,0,0] op_sel_hi:[0,1,0] // //C*=beta
v_cvt_f16_f32 v[vgprValuC+202], v[vgprValuC+202]   // convert C to fp16
_buffer_store_b16 v202, v200, s[sgprSrdD:sgprSrdD+3], 0, offen, offset:0,  glc slc // store D
v_fma_mix_f32 v[vgprValuC+205], s[sgprBeta], v204, v[vgprValuC+205], op_sel:[0,0,0] op_sel_hi:[0,1,0] // //C*=beta
v_cvt_f16_f32 v[vgprValuC+205], v[vgprValuC+205]   // convert C to fp16
_buffer_store_b16 v205, v203, s[sgprSrdD:sgprSrdD+3], 0, offen, offset:0,  glc slc // store D
v_fma_mix_f32 v[vgprValuC+208], s[sgprBeta], v207, v[vgprValuC+208], op_sel:[0,0,0] op_sel_hi:[0,1,0] // //C*=beta
v_cvt_f16_f32 v[vgprValuC+208], v[vgprValuC+208]   // convert C to fp16
_buffer_store_b16 v208, v206, s[sgprSrdD:sgprSrdD+3], 0, offen, offset:0,  glc slc // store D
v_fma_mix_f32 v[vgprValuC+211], s[sgprBeta], v210, v[vgprValuC+211], op_sel:[0,0,0] op_sel_hi:[0,1,0] // //C*=beta
v_cvt_f16_f32 v[vgprValuC+211], v[vgprValuC+211]   // convert C to fp16
_buffer_store_b16 v211, v209, s[sgprSrdD:sgprSrdD+3], 0, offen, offset:0,  glc slc // store D
v_fma_mix_f32 v[vgprValuC+214], s[sgprBeta], v213, v[vgprValuC+214], op_sel:[0,0,0] op_sel_hi:[0,1,0] // //C*=beta
v_cvt_f16_f32 v[vgprValuC+214], v[vgprValuC+214]   // convert C to fp16
_buffer_store_b16 v214, v212, s[sgprSrdD:sgprSrdD+3], 0, offen, offset:0,  glc slc // store D
v_fma_mix_f32 v[vgprValuC+217], s[sgprBeta], v216, v[vgprValuC+217], op_sel:[0,0,0] op_sel_hi:[0,1,0] // //C*=beta
v_cvt_f16_f32 v[vgprValuC+217], v[vgprValuC+217]   // convert C to fp16
_buffer_store_b16 v217, v215, s[sgprSrdD:sgprSrdD+3], 0, offen, offset:0,  glc slc // store D
v_fma_mix_f32 v[vgprValuC+220], s[sgprBeta], v219, v[vgprValuC+220], op_sel:[0,0,0] op_sel_hi:[0,1,0] // //C*=beta
v_cvt_f16_f32 v[vgprValuC+220], v[vgprValuC+220]   // convert C to fp16
_buffer_store_b16 v220, v218, s[sgprSrdD:sgprSrdD+3], 0, offen, offset:0,  glc slc // store D
v_fma_mix_f32 v[vgprValuC+223], s[sgprBeta], v222, v[vgprValuC+223], op_sel:[0,0,0] op_sel_hi:[0,1,0] // //C*=beta
v_cvt_f16_f32 v[vgprValuC+223], v[vgprValuC+223]   // convert C to fp16
_buffer_store_b16 v223, v221, s[sgprSrdD:sgprSrdD+3], 0, offen, offset:0,  glc slc // store D
v_fma_mix_f32 v[vgprValuC+226], s[sgprBeta], v225, v[vgprValuC+226], op_sel:[0,0,0] op_sel_hi:[0,1,0] // //C*=beta
v_cvt_f16_f32 v[vgprValuC+226], v[vgprValuC+226]   // convert C to fp16
_buffer_store_b16 v226, v224, s[sgprSrdD:sgprSrdD+3], 0, offen, offset:0,  glc slc // store D
v_fma_mix_f32 v[vgprValuC+229], s[sgprBeta], v228, v[vgprValuC+229], op_sel:[0,0,0] op_sel_hi:[0,1,0] // //C*=beta
v_cvt_f16_f32 v[vgprValuC+229], v[vgprValuC+229]   // convert C to fp16
_buffer_store_b16 v229, v227, s[sgprSrdD:sgprSrdD+3], 0, offen, offset:0,  glc slc // store D
v_fma_mix_f32 v[vgprValuC+232], s[sgprBeta], v231, v[vgprValuC+232], op_sel:[0,0,0] op_sel_hi:[0,1,0] // //C*=beta
v_cvt_f16_f32 v[vgprValuC+232], v[vgprValuC+232]   // convert C to fp16
_buffer_store_b16 v232, v230, s[sgprSrdD:sgprSrdD+3], 0, offen, offset:0,  glc slc // store D
v_fma_mix_f32 v[vgprValuC+235], s[sgprBeta], v234, v[vgprValuC+235], op_sel:[0,0,0] op_sel_hi:[0,1,0] // //C*=beta
v_cvt_f16_f32 v[vgprValuC+235], v[vgprValuC+235]   // convert C to fp16
_buffer_store_b16 v235, v233, s[sgprSrdD:sgprSrdD+3], 0, offen, offset:0,  glc slc // store D
v_fma_mix_f32 v[vgprValuC+238], s[sgprBeta], v237, v[vgprValuC+238], op_sel:[0,0,0] op_sel_hi:[0,1,0] // //C*=beta
v_cvt_f16_f32 v[vgprValuC+238], v[vgprValuC+238]   // convert C to fp16
_buffer_store_b16 v238, v236, s[sgprSrdD:sgprSrdD+3], 0, offen, offset:0,  glc slc // store D
v_fma_mix_f32 v[vgprValuC+241], s[sgprBeta], v240, v[vgprValuC+241], op_sel:[0,0,0] op_sel_hi:[0,1,0] // //C*=beta
v_cvt_f16_f32 v[vgprValuC+241], v[vgprValuC+241]   // convert C to fp16
_buffer_store_b16 v241, v239, s[sgprSrdD:sgprSrdD+3], 0, offen, offset:0,  glc slc // store D
v_fma_mix_f32 v[vgprValuC+244], s[sgprBeta], v243, v[vgprValuC+244], op_sel:[0,0,0] op_sel_hi:[0,1,0] // //C*=beta
v_cvt_f16_f32 v[vgprValuC+244], v[vgprValuC+244]   // convert C to fp16
_buffer_store_b16 v244, v242, s[sgprSrdD:sgprSrdD+3], 0, offen, offset:0,  glc slc // store D
v_fma_mix_f32 v[vgprValuC+247], s[sgprBeta], v246, v[vgprValuC+247], op_sel:[0,0,0] op_sel_hi:[0,1,0] // //C*=beta
v_cvt_f16_f32 v[vgprValuC+247], v[vgprValuC+247]   // convert C to fp16
_buffer_store_b16 v247, v245, s[sgprSrdD:sgprSrdD+3], 0, offen, offset:0,  glc slc // store D
v_fma_mix_f32 v[vgprValuC+250], s[sgprBeta], v249, v[vgprValuC+250], op_sel:[0,0,0] op_sel_hi:[0,1,0] // //C*=beta
v_cvt_f16_f32 v[vgprValuC+250], v[vgprValuC+250]   // convert C to fp16
_buffer_store_b16 v250, v248, s[sgprSrdD:sgprSrdD+3], 0, offen, offset:0,  glc slc // store D
s_nop 0                                            // 1 wait state required when next inst writes vgprs held by previous dwordx4 store inst
/* optSingleColVgpr=0 optSharedColVgpr=0 optSGPRUsage=BufferLoad_Edge_Mask optSrdIncForRow=0 */

/******************************************/
/* Global Write Alpha Beta Edge Batch #1 (d1,d0,vc1,vc0) = */
/*    (6,0,0,0:vw1); (6,1,0,0:vw1); (6,0,1,0:vw1); (6,1,1,0:vw1); (6,0,2,0:vw1); (6,1,2,0:vw1); (6,0,3,0:vw1); (6,1,3,0:vw1); (7,0,0,0:vw1); (7,1,0,0:vw1); (7,0,1,0:vw1); (7,1,1,0:vw1); (7,0,2,0:vw1); (7,1,2,0:vw1); (7,0,3,0:vw1); (7,1,3,0:vw1); (8,0,0,0:vw1); (8,1,0,0:vw1); (8,0,1,0:vw1); (8,1,1,0:vw1); (8,0,2,0:vw1); (8,1,2,0:vw1); (8,0,3,0:vw1); (8,1,3,0:vw1); (9,0,0,0:vw1); (9,1,0,0:vw1); (9,0,1,0:vw1); (9,1,1,0:vw1); (9,0,2,0:vw1); (9,1,2,0:vw1); (9,0,3,0:vw1); (9,1,3,0:vw1); (10,0,0,0:vw1); (10,1,0,0:vw1); (10,0,1,0:vw1); (10,1,1,0:vw1); (10,0,2,0:vw1); (10,1,2,0:vw1); (10,0,3,0:vw1); (10,1,3,0:vw1); (11,0,0,0:vw1); (11,1,0,0:vw1); (11,0,1,0:vw1); (11,1,1,0:vw1); (11,0,2,0:vw1); (11,1,2,0:vw1); (11,0,3,0:vw1); (11,1,3,0:vw1) */
/******************************************/

/* calc coords, apply mask, and issue loads (if necessary) */
/* (d1,vc1,d0,vc0)=(6,0,0,0) */
_v_add_co_u32 v97, vcc, v97, 5                     // coord1.1: coord1Vgpr += d1*sg1*VW + vc1

/* Fix for UseInitialStridesCD, emitAddressSetupCode */
s_mul_i32 s52, s[sgprStrideC1J], 5                 // scale stride
_v_add_u32 v98, v98, s52                           // ROWINC- Move cinRowPtr to next row
s_mul_i32 s52, s[sgprStrideD1J], 5                 // scale stride
_v_add_u32 v99, v99, s52                           // Move coutRowPtr to next row
v_cmp_lt_u32 s[52:53], v96, s[sgprSizeI]           // coord0 < size0
v_cmp_lt_u32 s[56:57], v97, s[sgprSizeJ]           // coord1 < size1
s_and_b64 s[56:57], s[52:53], s[56:57]             // in0 && in1
_v_add_lshl_u32 v102, v98, v96, 0x1                // scaleToBpe: accumulate d0 lower and *= bpe into Cin addr
v_cndmask_b32 v102, -1, v102, s[56:57]             // LDC clip if OOB. offset
_buffer_load_d16_b16 v103, v102, s[sgprSrdC:sgprSrdC+3], 0, offen offset:0,  glc slc // load C for beta calc
_v_add_lshl_u32 v102, v99, v96, 0x1                // scaleToBpe: accumulate d0 lower and *= bpe into Cin addr
v_cndmask_b32 v102, -1, v102, s[56:57]             // LDD clip if OOB. offset
/* (d1,vc1,d0,vc0)=(6,0,1,0) */
_v_add_co_u32 v100, vcc, v96, 64                   // coord0.1: coord0 += d0*sg0*VW + vc0
v_cmp_lt_u32 s[52:53], v100, s[sgprSizeI]          // coord0 < size0
v_cmp_lt_u32 s[56:57], v97, s[sgprSizeJ]           // coord1 < size1
s_and_b64 s[56:57], s[52:53], s[56:57]             // in0 && in1
_v_add_lshl_u32 v105, v98, v100, 0x1               // scaleToBpe: accumulate d0 lower and *= bpe into Cin addr
v_cndmask_b32 v105, -1, v105, s[56:57]             // LDC clip if OOB. offset
_buffer_load_d16_b16 v106, v105, s[sgprSrdC:sgprSrdC+3], 0, offen offset:0,  glc slc // load C for beta calc
_v_add_lshl_u32 v105, v99, v100, 0x1               // scaleToBpe: accumulate d0 lower and *= bpe into Cin addr
v_cndmask_b32 v105, -1, v105, s[56:57]             // LDD clip if OOB. offset
/* (d1,vc1,d0,vc0)=(6,1,0,0) */
_v_add_co_u32 v97, vcc, v97, 1                     // coord1.1: coord1Vgpr += d1*sg1*VW + vc1

/* Fix for UseInitialStridesCD, emitAddressSetupCode */
_v_add_u32 v98, v98, s[sgprStrideC1J]              // ROWINC- Move cinRowPtr to next row
_v_add_u32 v99, v99, s[sgprStrideD1J]              // Move coutRowPtr to next row
v_cmp_lt_u32 s[52:53], v96, s[sgprSizeI]           // coord0 < size0
v_cmp_lt_u32 s[56:57], v97, s[sgprSizeJ]           // coord1 < size1
s_and_b64 s[56:57], s[52:53], s[56:57]             // in0 && in1
_v_add_lshl_u32 v108, v98, v96, 0x1                // scaleToBpe: accumulate d0 lower and *= bpe into Cin addr
v_cndmask_b32 v108, -1, v108, s[56:57]             // LDC clip if OOB. offset
_buffer_load_d16_b16 v109, v108, s[sgprSrdC:sgprSrdC+3], 0, offen offset:0,  glc slc // load C for beta calc
_v_add_lshl_u32 v108, v99, v96, 0x1                // scaleToBpe: accumulate d0 lower and *= bpe into Cin addr
v_cndmask_b32 v108, -1, v108, s[56:57]             // LDD clip if OOB. offset
/* (d1,vc1,d0,vc0)=(6,1,1,0) */
_v_add_co_u32 v100, vcc, v96, 64                   // coord0.1: coord0 += d0*sg0*VW + vc0
v_cmp_lt_u32 s[52:53], v100, s[sgprSizeI]          // coord0 < size0
v_cmp_lt_u32 s[56:57], v97, s[sgprSizeJ]           // coord1 < size1
s_and_b64 s[56:57], s[52:53], s[56:57]             // in0 && in1
_v_add_lshl_u32 v111, v98, v100, 0x1               // scaleToBpe: accumulate d0 lower and *= bpe into Cin addr
v_cndmask_b32 v111, -1, v111, s[56:57]             // LDC clip if OOB. offset
_buffer_load_d16_b16 v112, v111, s[sgprSrdC:sgprSrdC+3], 0, offen offset:0,  glc slc // load C for beta calc
_v_add_lshl_u32 v111, v99, v100, 0x1               // scaleToBpe: accumulate d0 lower and *= bpe into Cin addr
v_cndmask_b32 v111, -1, v111, s[56:57]             // LDD clip if OOB. offset
/* (d1,vc1,d0,vc0)=(6,2,0,0) */
_v_add_co_u32 v97, vcc, v97, 1                     // coord1.1: coord1Vgpr += d1*sg1*VW + vc1

/* Fix for UseInitialStridesCD, emitAddressSetupCode */
_v_add_u32 v98, v98, s[sgprStrideC1J]              // ROWINC- Move cinRowPtr to next row
_v_add_u32 v99, v99, s[sgprStrideD1J]              // Move coutRowPtr to next row
	;; [unrolled: 24-line block ×3, first 2 shown]
v_cmp_lt_u32 s[52:53], v96, s[sgprSizeI]           // coord0 < size0
v_cmp_lt_u32 s[56:57], v97, s[sgprSizeJ]           // coord1 < size1
s_and_b64 s[56:57], s[52:53], s[56:57]             // in0 && in1
_v_add_lshl_u32 v120, v98, v96, 0x1                // scaleToBpe: accumulate d0 lower and *= bpe into Cin addr
v_cndmask_b32 v120, -1, v120, s[56:57]             // LDC clip if OOB. offset
_buffer_load_d16_b16 v121, v120, s[sgprSrdC:sgprSrdC+3], 0, offen offset:0,  glc slc // load C for beta calc
_v_add_lshl_u32 v120, v99, v96, 0x1                // scaleToBpe: accumulate d0 lower and *= bpe into Cin addr
v_cndmask_b32 v120, -1, v120, s[56:57]             // LDD clip if OOB. offset
/* (d1,vc1,d0,vc0)=(6,3,1,0) */
_v_add_co_u32 v100, vcc, v96, 64                   // coord0.1: coord0 += d0*sg0*VW + vc0
v_cmp_lt_u32 s[52:53], v100, s[sgprSizeI]          // coord0 < size0
v_cmp_lt_u32 s[56:57], v97, s[sgprSizeJ]           // coord1 < size1
s_and_b64 s[56:57], s[52:53], s[56:57]             // in0 && in1
_v_add_lshl_u32 v123, v98, v100, 0x1               // scaleToBpe: accumulate d0 lower and *= bpe into Cin addr
v_cndmask_b32 v123, -1, v123, s[56:57]             // LDC clip if OOB. offset
_buffer_load_d16_b16 v124, v123, s[sgprSrdC:sgprSrdC+3], 0, offen offset:0,  glc slc // load C for beta calc
_v_add_lshl_u32 v123, v99, v100, 0x1               // scaleToBpe: accumulate d0 lower and *= bpe into Cin addr
v_cndmask_b32 v123, -1, v123, s[56:57]             // LDD clip if OOB. offset
/* (d1,vc1,d0,vc0)=(7,0,0,0) */
_v_add_co_u32 v97, vcc, v97, 5                     // coord1.1: coord1Vgpr += d1*sg1*VW + vc1

/* Fix for UseInitialStridesCD, emitAddressSetupCode */
s_mul_i32 s52, s[sgprStrideC1J], 5                 // scale stride
_v_add_u32 v98, v98, s52                           // ROWINC- Move cinRowPtr to next row
s_mul_i32 s52, s[sgprStrideD1J], 5                 // scale stride
_v_add_u32 v99, v99, s52                           // Move coutRowPtr to next row
v_cmp_lt_u32 s[52:53], v96, s[sgprSizeI]           // coord0 < size0
v_cmp_lt_u32 s[56:57], v97, s[sgprSizeJ]           // coord1 < size1
s_and_b64 s[56:57], s[52:53], s[56:57]             // in0 && in1
_v_add_lshl_u32 v126, v98, v96, 0x1                // scaleToBpe: accumulate d0 lower and *= bpe into Cin addr
v_cndmask_b32 v126, -1, v126, s[56:57]             // LDC clip if OOB. offset
_buffer_load_d16_b16 v127, v126, s[sgprSrdC:sgprSrdC+3], 0, offen offset:0,  glc slc // load C for beta calc
_v_add_lshl_u32 v126, v99, v96, 0x1                // scaleToBpe: accumulate d0 lower and *= bpe into Cin addr
v_cndmask_b32 v126, -1, v126, s[56:57]             // LDD clip if OOB. offset
/* (d1,vc1,d0,vc0)=(7,0,1,0) */
_v_add_co_u32 v100, vcc, v96, 64                   // coord0.1: coord0 += d0*sg0*VW + vc0
v_cmp_lt_u32 s[52:53], v100, s[sgprSizeI]          // coord0 < size0
v_cmp_lt_u32 s[56:57], v97, s[sgprSizeJ]           // coord1 < size1
s_and_b64 s[56:57], s[52:53], s[56:57]             // in0 && in1
_v_add_lshl_u32 v129, v98, v100, 0x1               // scaleToBpe: accumulate d0 lower and *= bpe into Cin addr
v_cndmask_b32 v129, -1, v129, s[56:57]             // LDC clip if OOB. offset
_buffer_load_d16_b16 v130, v129, s[sgprSrdC:sgprSrdC+3], 0, offen offset:0,  glc slc // load C for beta calc
_v_add_lshl_u32 v129, v99, v100, 0x1               // scaleToBpe: accumulate d0 lower and *= bpe into Cin addr
v_cndmask_b32 v129, -1, v129, s[56:57]             // LDD clip if OOB. offset
/* (d1,vc1,d0,vc0)=(7,1,0,0) */
_v_add_co_u32 v97, vcc, v97, 1                     // coord1.1: coord1Vgpr += d1*sg1*VW + vc1

/* Fix for UseInitialStridesCD, emitAddressSetupCode */
_v_add_u32 v98, v98, s[sgprStrideC1J]              // ROWINC- Move cinRowPtr to next row
_v_add_u32 v99, v99, s[sgprStrideD1J]              // Move coutRowPtr to next row
v_cmp_lt_u32 s[52:53], v96, s[sgprSizeI]           // coord0 < size0
v_cmp_lt_u32 s[56:57], v97, s[sgprSizeJ]           // coord1 < size1
s_and_b64 s[56:57], s[52:53], s[56:57]             // in0 && in1
_v_add_lshl_u32 v132, v98, v96, 0x1                // scaleToBpe: accumulate d0 lower and *= bpe into Cin addr
v_cndmask_b32 v132, -1, v132, s[56:57]             // LDC clip if OOB. offset
_buffer_load_d16_b16 v133, v132, s[sgprSrdC:sgprSrdC+3], 0, offen offset:0,  glc slc // load C for beta calc
_v_add_lshl_u32 v132, v99, v96, 0x1                // scaleToBpe: accumulate d0 lower and *= bpe into Cin addr
v_cndmask_b32 v132, -1, v132, s[56:57]             // LDD clip if OOB. offset
/* (d1,vc1,d0,vc0)=(7,1,1,0) */
_v_add_co_u32 v100, vcc, v96, 64                   // coord0.1: coord0 += d0*sg0*VW + vc0
v_cmp_lt_u32 s[52:53], v100, s[sgprSizeI]          // coord0 < size0
v_cmp_lt_u32 s[56:57], v97, s[sgprSizeJ]           // coord1 < size1
s_and_b64 s[56:57], s[52:53], s[56:57]             // in0 && in1
_v_add_lshl_u32 v135, v98, v100, 0x1               // scaleToBpe: accumulate d0 lower and *= bpe into Cin addr
v_cndmask_b32 v135, -1, v135, s[56:57]             // LDC clip if OOB. offset
_buffer_load_d16_b16 v136, v135, s[sgprSrdC:sgprSrdC+3], 0, offen offset:0,  glc slc // load C for beta calc
_v_add_lshl_u32 v135, v99, v100, 0x1               // scaleToBpe: accumulate d0 lower and *= bpe into Cin addr
v_cndmask_b32 v135, -1, v135, s[56:57]             // LDD clip if OOB. offset
/* (d1,vc1,d0,vc0)=(7,2,0,0) */
_v_add_co_u32 v97, vcc, v97, 1                     // coord1.1: coord1Vgpr += d1*sg1*VW + vc1

/* Fix for UseInitialStridesCD, emitAddressSetupCode */
_v_add_u32 v98, v98, s[sgprStrideC1J]              // ROWINC- Move cinRowPtr to next row
_v_add_u32 v99, v99, s[sgprStrideD1J]              // Move coutRowPtr to next row
	;; [unrolled: 24-line block ×3, first 2 shown]
v_cmp_lt_u32 s[52:53], v96, s[sgprSizeI]           // coord0 < size0
v_cmp_lt_u32 s[56:57], v97, s[sgprSizeJ]           // coord1 < size1
s_and_b64 s[56:57], s[52:53], s[56:57]             // in0 && in1
_v_add_lshl_u32 v149, v98, v96, 0x1                // scaleToBpe: accumulate d0 lower and *= bpe into Cin addr
v_cndmask_b32 v149, -1, v149, s[56:57]             // LDC clip if OOB. offset
_buffer_load_d16_b16 v150, v149, s[sgprSrdC:sgprSrdC+3], 0, offen offset:0,  glc slc // load C for beta calc
_v_add_lshl_u32 v149, v99, v96, 0x1                // scaleToBpe: accumulate d0 lower and *= bpe into Cin addr
v_cndmask_b32 v149, -1, v149, s[56:57]             // LDD clip if OOB. offset
/* (d1,vc1,d0,vc0)=(7,3,1,0) */
_v_add_co_u32 v100, vcc, v96, 64                   // coord0.1: coord0 += d0*sg0*VW + vc0
v_cmp_lt_u32 s[52:53], v100, s[sgprSizeI]          // coord0 < size0
v_cmp_lt_u32 s[56:57], v97, s[sgprSizeJ]           // coord1 < size1
s_and_b64 s[56:57], s[52:53], s[56:57]             // in0 && in1
_v_add_lshl_u32 v152, v98, v100, 0x1               // scaleToBpe: accumulate d0 lower and *= bpe into Cin addr
v_cndmask_b32 v152, -1, v152, s[56:57]             // LDC clip if OOB. offset
_buffer_load_d16_b16 v153, v152, s[sgprSrdC:sgprSrdC+3], 0, offen offset:0,  glc slc // load C for beta calc
_v_add_lshl_u32 v152, v99, v100, 0x1               // scaleToBpe: accumulate d0 lower and *= bpe into Cin addr
v_cndmask_b32 v152, -1, v152, s[56:57]             // LDD clip if OOB. offset
/* (d1,vc1,d0,vc0)=(8,0,0,0) */
_v_add_co_u32 v97, vcc, v97, 37                    // coord1.1: coord1Vgpr += d1*sg1*VW + vc1

/* Fix for UseInitialStridesCD, emitAddressSetupCode */
s_mul_i32 s52, s[sgprStrideC1J], 37                // scale stride
_v_add_u32 v98, v98, s52                           // ROWINC- Move cinRowPtr to next row
s_mul_i32 s52, s[sgprStrideD1J], 37                // scale stride
_v_add_u32 v99, v99, s52                           // Move coutRowPtr to next row
v_cmp_lt_u32 s[52:53], v96, s[sgprSizeI]           // coord0 < size0
v_cmp_lt_u32 s[56:57], v97, s[sgprSizeJ]           // coord1 < size1
s_and_b64 s[56:57], s[52:53], s[56:57]             // in0 && in1
_v_add_lshl_u32 v155, v98, v96, 0x1                // scaleToBpe: accumulate d0 lower and *= bpe into Cin addr
v_cndmask_b32 v155, -1, v155, s[56:57]             // LDC clip if OOB. offset
_buffer_load_d16_b16 v156, v155, s[sgprSrdC:sgprSrdC+3], 0, offen offset:0,  glc slc // load C for beta calc
_v_add_lshl_u32 v155, v99, v96, 0x1                // scaleToBpe: accumulate d0 lower and *= bpe into Cin addr
v_cndmask_b32 v155, -1, v155, s[56:57]             // LDD clip if OOB. offset
/* (d1,vc1,d0,vc0)=(8,0,1,0) */
_v_add_co_u32 v100, vcc, v96, 64                   // coord0.1: coord0 += d0*sg0*VW + vc0
v_cmp_lt_u32 s[52:53], v100, s[sgprSizeI]          // coord0 < size0
v_cmp_lt_u32 s[56:57], v97, s[sgprSizeJ]           // coord1 < size1
s_and_b64 s[56:57], s[52:53], s[56:57]             // in0 && in1
_v_add_lshl_u32 v158, v98, v100, 0x1               // scaleToBpe: accumulate d0 lower and *= bpe into Cin addr
v_cndmask_b32 v158, -1, v158, s[56:57]             // LDC clip if OOB. offset
_buffer_load_d16_b16 v159, v158, s[sgprSrdC:sgprSrdC+3], 0, offen offset:0,  glc slc // load C for beta calc
_v_add_lshl_u32 v158, v99, v100, 0x1               // scaleToBpe: accumulate d0 lower and *= bpe into Cin addr
v_cndmask_b32 v158, -1, v158, s[56:57]             // LDD clip if OOB. offset
/* (d1,vc1,d0,vc0)=(8,1,0,0) */
_v_add_co_u32 v97, vcc, v97, 1                     // coord1.1: coord1Vgpr += d1*sg1*VW + vc1

/* Fix for UseInitialStridesCD, emitAddressSetupCode */
_v_add_u32 v98, v98, s[sgprStrideC1J]              // ROWINC- Move cinRowPtr to next row
_v_add_u32 v99, v99, s[sgprStrideD1J]              // Move coutRowPtr to next row
v_cmp_lt_u32 s[52:53], v96, s[sgprSizeI]           // coord0 < size0
v_cmp_lt_u32 s[56:57], v97, s[sgprSizeJ]           // coord1 < size1
s_and_b64 s[56:57], s[52:53], s[56:57]             // in0 && in1
_v_add_lshl_u32 v161, v98, v96, 0x1                // scaleToBpe: accumulate d0 lower and *= bpe into Cin addr
v_cndmask_b32 v161, -1, v161, s[56:57]             // LDC clip if OOB. offset
_buffer_load_d16_b16 v162, v161, s[sgprSrdC:sgprSrdC+3], 0, offen offset:0,  glc slc // load C for beta calc
_v_add_lshl_u32 v161, v99, v96, 0x1                // scaleToBpe: accumulate d0 lower and *= bpe into Cin addr
v_cndmask_b32 v161, -1, v161, s[56:57]             // LDD clip if OOB. offset
/* (d1,vc1,d0,vc0)=(8,1,1,0) */
_v_add_co_u32 v100, vcc, v96, 64                   // coord0.1: coord0 += d0*sg0*VW + vc0
v_cmp_lt_u32 s[52:53], v100, s[sgprSizeI]          // coord0 < size0
v_cmp_lt_u32 s[56:57], v97, s[sgprSizeJ]           // coord1 < size1
s_and_b64 s[56:57], s[52:53], s[56:57]             // in0 && in1
_v_add_lshl_u32 v164, v98, v100, 0x1               // scaleToBpe: accumulate d0 lower and *= bpe into Cin addr
v_cndmask_b32 v164, -1, v164, s[56:57]             // LDC clip if OOB. offset
_buffer_load_d16_b16 v165, v164, s[sgprSrdC:sgprSrdC+3], 0, offen offset:0,  glc slc // load C for beta calc
_v_add_lshl_u32 v164, v99, v100, 0x1               // scaleToBpe: accumulate d0 lower and *= bpe into Cin addr
v_cndmask_b32 v164, -1, v164, s[56:57]             // LDD clip if OOB. offset
/* (d1,vc1,d0,vc0)=(8,2,0,0) */
_v_add_co_u32 v97, vcc, v97, 1                     // coord1.1: coord1Vgpr += d1*sg1*VW + vc1

/* Fix for UseInitialStridesCD, emitAddressSetupCode */
_v_add_u32 v98, v98, s[sgprStrideC1J]              // ROWINC- Move cinRowPtr to next row
_v_add_u32 v99, v99, s[sgprStrideD1J]              // Move coutRowPtr to next row
	;; [unrolled: 24-line block ×3, first 2 shown]
v_cmp_lt_u32 s[52:53], v96, s[sgprSizeI]           // coord0 < size0
v_cmp_lt_u32 s[56:57], v97, s[sgprSizeJ]           // coord1 < size1
s_and_b64 s[56:57], s[52:53], s[56:57]             // in0 && in1
_v_add_lshl_u32 v173, v98, v96, 0x1                // scaleToBpe: accumulate d0 lower and *= bpe into Cin addr
v_cndmask_b32 v173, -1, v173, s[56:57]             // LDC clip if OOB. offset
_buffer_load_d16_b16 v174, v173, s[sgprSrdC:sgprSrdC+3], 0, offen offset:0,  glc slc // load C for beta calc
_v_add_lshl_u32 v173, v99, v96, 0x1                // scaleToBpe: accumulate d0 lower and *= bpe into Cin addr
v_cndmask_b32 v173, -1, v173, s[56:57]             // LDD clip if OOB. offset
/* (d1,vc1,d0,vc0)=(8,3,1,0) */
_v_add_co_u32 v100, vcc, v96, 64                   // coord0.1: coord0 += d0*sg0*VW + vc0
v_cmp_lt_u32 s[52:53], v100, s[sgprSizeI]          // coord0 < size0
v_cmp_lt_u32 s[56:57], v97, s[sgprSizeJ]           // coord1 < size1
s_and_b64 s[56:57], s[52:53], s[56:57]             // in0 && in1
_v_add_lshl_u32 v176, v98, v100, 0x1               // scaleToBpe: accumulate d0 lower and *= bpe into Cin addr
v_cndmask_b32 v176, -1, v176, s[56:57]             // LDC clip if OOB. offset
_buffer_load_d16_b16 v177, v176, s[sgprSrdC:sgprSrdC+3], 0, offen offset:0,  glc slc // load C for beta calc
_v_add_lshl_u32 v176, v99, v100, 0x1               // scaleToBpe: accumulate d0 lower and *= bpe into Cin addr
v_cndmask_b32 v176, -1, v176, s[56:57]             // LDD clip if OOB. offset
/* (d1,vc1,d0,vc0)=(9,0,0,0) */
_v_add_co_u32 v97, vcc, v97, 5                     // coord1.1: coord1Vgpr += d1*sg1*VW + vc1

/* Fix for UseInitialStridesCD, emitAddressSetupCode */
s_mul_i32 s52, s[sgprStrideC1J], 5                 // scale stride
_v_add_u32 v98, v98, s52                           // ROWINC- Move cinRowPtr to next row
s_mul_i32 s52, s[sgprStrideD1J], 5                 // scale stride
_v_add_u32 v99, v99, s52                           // Move coutRowPtr to next row
v_cmp_lt_u32 s[52:53], v96, s[sgprSizeI]           // coord0 < size0
v_cmp_lt_u32 s[56:57], v97, s[sgprSizeJ]           // coord1 < size1
s_and_b64 s[56:57], s[52:53], s[56:57]             // in0 && in1
_v_add_lshl_u32 v179, v98, v96, 0x1                // scaleToBpe: accumulate d0 lower and *= bpe into Cin addr
v_cndmask_b32 v179, -1, v179, s[56:57]             // LDC clip if OOB. offset
_buffer_load_d16_b16 v180, v179, s[sgprSrdC:sgprSrdC+3], 0, offen offset:0,  glc slc // load C for beta calc
_v_add_lshl_u32 v179, v99, v96, 0x1                // scaleToBpe: accumulate d0 lower and *= bpe into Cin addr
v_cndmask_b32 v179, -1, v179, s[56:57]             // LDD clip if OOB. offset
/* (d1,vc1,d0,vc0)=(9,0,1,0) */
_v_add_co_u32 v100, vcc, v96, 64                   // coord0.1: coord0 += d0*sg0*VW + vc0
v_cmp_lt_u32 s[52:53], v100, s[sgprSizeI]          // coord0 < size0
v_cmp_lt_u32 s[56:57], v97, s[sgprSizeJ]           // coord1 < size1
s_and_b64 s[56:57], s[52:53], s[56:57]             // in0 && in1
_v_add_lshl_u32 v182, v98, v100, 0x1               // scaleToBpe: accumulate d0 lower and *= bpe into Cin addr
v_cndmask_b32 v182, -1, v182, s[56:57]             // LDC clip if OOB. offset
_buffer_load_d16_b16 v183, v182, s[sgprSrdC:sgprSrdC+3], 0, offen offset:0,  glc slc // load C for beta calc
_v_add_lshl_u32 v182, v99, v100, 0x1               // scaleToBpe: accumulate d0 lower and *= bpe into Cin addr
v_cndmask_b32 v182, -1, v182, s[56:57]             // LDD clip if OOB. offset
/* (d1,vc1,d0,vc0)=(9,1,0,0) */
_v_add_co_u32 v97, vcc, v97, 1                     // coord1.1: coord1Vgpr += d1*sg1*VW + vc1

/* Fix for UseInitialStridesCD, emitAddressSetupCode */
_v_add_u32 v98, v98, s[sgprStrideC1J]              // ROWINC- Move cinRowPtr to next row
_v_add_u32 v99, v99, s[sgprStrideD1J]              // Move coutRowPtr to next row
v_cmp_lt_u32 s[52:53], v96, s[sgprSizeI]           // coord0 < size0
v_cmp_lt_u32 s[56:57], v97, s[sgprSizeJ]           // coord1 < size1
s_and_b64 s[56:57], s[52:53], s[56:57]             // in0 && in1
_v_add_lshl_u32 v185, v98, v96, 0x1                // scaleToBpe: accumulate d0 lower and *= bpe into Cin addr
v_cndmask_b32 v185, -1, v185, s[56:57]             // LDC clip if OOB. offset
_buffer_load_d16_b16 v186, v185, s[sgprSrdC:sgprSrdC+3], 0, offen offset:0,  glc slc // load C for beta calc
_v_add_lshl_u32 v185, v99, v96, 0x1                // scaleToBpe: accumulate d0 lower and *= bpe into Cin addr
v_cndmask_b32 v185, -1, v185, s[56:57]             // LDD clip if OOB. offset
/* (d1,vc1,d0,vc0)=(9,1,1,0) */
_v_add_co_u32 v100, vcc, v96, 64                   // coord0.1: coord0 += d0*sg0*VW + vc0
v_cmp_lt_u32 s[52:53], v100, s[sgprSizeI]          // coord0 < size0
v_cmp_lt_u32 s[56:57], v97, s[sgprSizeJ]           // coord1 < size1
s_and_b64 s[56:57], s[52:53], s[56:57]             // in0 && in1
_v_add_lshl_u32 v188, v98, v100, 0x1               // scaleToBpe: accumulate d0 lower and *= bpe into Cin addr
v_cndmask_b32 v188, -1, v188, s[56:57]             // LDC clip if OOB. offset
_buffer_load_d16_b16 v189, v188, s[sgprSrdC:sgprSrdC+3], 0, offen offset:0,  glc slc // load C for beta calc
_v_add_lshl_u32 v188, v99, v100, 0x1               // scaleToBpe: accumulate d0 lower and *= bpe into Cin addr
v_cndmask_b32 v188, -1, v188, s[56:57]             // LDD clip if OOB. offset
/* (d1,vc1,d0,vc0)=(9,2,0,0) */
_v_add_co_u32 v97, vcc, v97, 1                     // coord1.1: coord1Vgpr += d1*sg1*VW + vc1

/* Fix for UseInitialStridesCD, emitAddressSetupCode */
_v_add_u32 v98, v98, s[sgprStrideC1J]              // ROWINC- Move cinRowPtr to next row
_v_add_u32 v99, v99, s[sgprStrideD1J]              // Move coutRowPtr to next row
	;; [unrolled: 24-line block ×3, first 2 shown]
v_cmp_lt_u32 s[52:53], v96, s[sgprSizeI]           // coord0 < size0
v_cmp_lt_u32 s[56:57], v97, s[sgprSizeJ]           // coord1 < size1
s_and_b64 s[56:57], s[52:53], s[56:57]             // in0 && in1
_v_add_lshl_u32 v197, v98, v96, 0x1                // scaleToBpe: accumulate d0 lower and *= bpe into Cin addr
v_cndmask_b32 v197, -1, v197, s[56:57]             // LDC clip if OOB. offset
_buffer_load_d16_b16 v198, v197, s[sgprSrdC:sgprSrdC+3], 0, offen offset:0,  glc slc // load C for beta calc
_v_add_lshl_u32 v197, v99, v96, 0x1                // scaleToBpe: accumulate d0 lower and *= bpe into Cin addr
v_cndmask_b32 v197, -1, v197, s[56:57]             // LDD clip if OOB. offset
/* (d1,vc1,d0,vc0)=(9,3,1,0) */
_v_add_co_u32 v100, vcc, v96, 64                   // coord0.1: coord0 += d0*sg0*VW + vc0
v_cmp_lt_u32 s[52:53], v100, s[sgprSizeI]          // coord0 < size0
v_cmp_lt_u32 s[56:57], v97, s[sgprSizeJ]           // coord1 < size1
s_and_b64 s[56:57], s[52:53], s[56:57]             // in0 && in1
_v_add_lshl_u32 v200, v98, v100, 0x1               // scaleToBpe: accumulate d0 lower and *= bpe into Cin addr
v_cndmask_b32 v200, -1, v200, s[56:57]             // LDC clip if OOB. offset
_buffer_load_d16_b16 v201, v200, s[sgprSrdC:sgprSrdC+3], 0, offen offset:0,  glc slc // load C for beta calc
_v_add_lshl_u32 v200, v99, v100, 0x1               // scaleToBpe: accumulate d0 lower and *= bpe into Cin addr
v_cndmask_b32 v200, -1, v200, s[56:57]             // LDD clip if OOB. offset
/* (d1,vc1,d0,vc0)=(10,0,0,0) */
_v_add_co_u32 v97, vcc, v97, 5                     // coord1.1: coord1Vgpr += d1*sg1*VW + vc1

/* Fix for UseInitialStridesCD, emitAddressSetupCode */
s_mul_i32 s52, s[sgprStrideC1J], 5                 // scale stride
_v_add_u32 v98, v98, s52                           // ROWINC- Move cinRowPtr to next row
s_mul_i32 s52, s[sgprStrideD1J], 5                 // scale stride
_v_add_u32 v99, v99, s52                           // Move coutRowPtr to next row
v_cmp_lt_u32 s[52:53], v96, s[sgprSizeI]           // coord0 < size0
v_cmp_lt_u32 s[56:57], v97, s[sgprSizeJ]           // coord1 < size1
s_and_b64 s[56:57], s[52:53], s[56:57]             // in0 && in1
_v_add_lshl_u32 v203, v98, v96, 0x1                // scaleToBpe: accumulate d0 lower and *= bpe into Cin addr
v_cndmask_b32 v203, -1, v203, s[56:57]             // LDC clip if OOB. offset
_buffer_load_d16_b16 v204, v203, s[sgprSrdC:sgprSrdC+3], 0, offen offset:0,  glc slc // load C for beta calc
_v_add_lshl_u32 v203, v99, v96, 0x1                // scaleToBpe: accumulate d0 lower and *= bpe into Cin addr
v_cndmask_b32 v203, -1, v203, s[56:57]             // LDD clip if OOB. offset
/* (d1,vc1,d0,vc0)=(10,0,1,0) */
_v_add_co_u32 v100, vcc, v96, 64                   // coord0.1: coord0 += d0*sg0*VW + vc0
v_cmp_lt_u32 s[52:53], v100, s[sgprSizeI]          // coord0 < size0
v_cmp_lt_u32 s[56:57], v97, s[sgprSizeJ]           // coord1 < size1
s_and_b64 s[56:57], s[52:53], s[56:57]             // in0 && in1
_v_add_lshl_u32 v206, v98, v100, 0x1               // scaleToBpe: accumulate d0 lower and *= bpe into Cin addr
v_cndmask_b32 v206, -1, v206, s[56:57]             // LDC clip if OOB. offset
_buffer_load_d16_b16 v207, v206, s[sgprSrdC:sgprSrdC+3], 0, offen offset:0,  glc slc // load C for beta calc
_v_add_lshl_u32 v206, v99, v100, 0x1               // scaleToBpe: accumulate d0 lower and *= bpe into Cin addr
v_cndmask_b32 v206, -1, v206, s[56:57]             // LDD clip if OOB. offset
/* (d1,vc1,d0,vc0)=(10,1,0,0) */
_v_add_co_u32 v97, vcc, v97, 1                     // coord1.1: coord1Vgpr += d1*sg1*VW + vc1

/* Fix for UseInitialStridesCD, emitAddressSetupCode */
_v_add_u32 v98, v98, s[sgprStrideC1J]              // ROWINC- Move cinRowPtr to next row
_v_add_u32 v99, v99, s[sgprStrideD1J]              // Move coutRowPtr to next row
v_cmp_lt_u32 s[52:53], v96, s[sgprSizeI]           // coord0 < size0
v_cmp_lt_u32 s[56:57], v97, s[sgprSizeJ]           // coord1 < size1
s_and_b64 s[56:57], s[52:53], s[56:57]             // in0 && in1
_v_add_lshl_u32 v209, v98, v96, 0x1                // scaleToBpe: accumulate d0 lower and *= bpe into Cin addr
v_cndmask_b32 v209, -1, v209, s[56:57]             // LDC clip if OOB. offset
_buffer_load_d16_b16 v210, v209, s[sgprSrdC:sgprSrdC+3], 0, offen offset:0,  glc slc // load C for beta calc
_v_add_lshl_u32 v209, v99, v96, 0x1                // scaleToBpe: accumulate d0 lower and *= bpe into Cin addr
v_cndmask_b32 v209, -1, v209, s[56:57]             // LDD clip if OOB. offset
/* (d1,vc1,d0,vc0)=(10,1,1,0) */
_v_add_co_u32 v100, vcc, v96, 64                   // coord0.1: coord0 += d0*sg0*VW + vc0
v_cmp_lt_u32 s[52:53], v100, s[sgprSizeI]          // coord0 < size0
v_cmp_lt_u32 s[56:57], v97, s[sgprSizeJ]           // coord1 < size1
s_and_b64 s[56:57], s[52:53], s[56:57]             // in0 && in1
_v_add_lshl_u32 v212, v98, v100, 0x1               // scaleToBpe: accumulate d0 lower and *= bpe into Cin addr
v_cndmask_b32 v212, -1, v212, s[56:57]             // LDC clip if OOB. offset
_buffer_load_d16_b16 v213, v212, s[sgprSrdC:sgprSrdC+3], 0, offen offset:0,  glc slc // load C for beta calc
_v_add_lshl_u32 v212, v99, v100, 0x1               // scaleToBpe: accumulate d0 lower and *= bpe into Cin addr
v_cndmask_b32 v212, -1, v212, s[56:57]             // LDD clip if OOB. offset
/* (d1,vc1,d0,vc0)=(10,2,0,0) */
_v_add_co_u32 v97, vcc, v97, 1                     // coord1.1: coord1Vgpr += d1*sg1*VW + vc1

/* Fix for UseInitialStridesCD, emitAddressSetupCode */
_v_add_u32 v98, v98, s[sgprStrideC1J]              // ROWINC- Move cinRowPtr to next row
_v_add_u32 v99, v99, s[sgprStrideD1J]              // Move coutRowPtr to next row
	;; [unrolled: 24-line block ×3, first 2 shown]
v_cmp_lt_u32 s[52:53], v96, s[sgprSizeI]           // coord0 < size0
v_cmp_lt_u32 s[56:57], v97, s[sgprSizeJ]           // coord1 < size1
s_and_b64 s[56:57], s[52:53], s[56:57]             // in0 && in1
_v_add_lshl_u32 v221, v98, v96, 0x1                // scaleToBpe: accumulate d0 lower and *= bpe into Cin addr
v_cndmask_b32 v221, -1, v221, s[56:57]             // LDC clip if OOB. offset
_buffer_load_d16_b16 v222, v221, s[sgprSrdC:sgprSrdC+3], 0, offen offset:0,  glc slc // load C for beta calc
_v_add_lshl_u32 v221, v99, v96, 0x1                // scaleToBpe: accumulate d0 lower and *= bpe into Cin addr
v_cndmask_b32 v221, -1, v221, s[56:57]             // LDD clip if OOB. offset
/* (d1,vc1,d0,vc0)=(10,3,1,0) */
_v_add_co_u32 v100, vcc, v96, 64                   // coord0.1: coord0 += d0*sg0*VW + vc0
v_cmp_lt_u32 s[52:53], v100, s[sgprSizeI]          // coord0 < size0
v_cmp_lt_u32 s[56:57], v97, s[sgprSizeJ]           // coord1 < size1
s_and_b64 s[56:57], s[52:53], s[56:57]             // in0 && in1
_v_add_lshl_u32 v224, v98, v100, 0x1               // scaleToBpe: accumulate d0 lower and *= bpe into Cin addr
v_cndmask_b32 v224, -1, v224, s[56:57]             // LDC clip if OOB. offset
_buffer_load_d16_b16 v225, v224, s[sgprSrdC:sgprSrdC+3], 0, offen offset:0,  glc slc // load C for beta calc
_v_add_lshl_u32 v224, v99, v100, 0x1               // scaleToBpe: accumulate d0 lower and *= bpe into Cin addr
v_cndmask_b32 v224, -1, v224, s[56:57]             // LDD clip if OOB. offset
/* (d1,vc1,d0,vc0)=(11,0,0,0) */
_v_add_co_u32 v97, vcc, v97, 5                     // coord1.1: coord1Vgpr += d1*sg1*VW + vc1

/* Fix for UseInitialStridesCD, emitAddressSetupCode */
s_mul_i32 s52, s[sgprStrideC1J], 5                 // scale stride
_v_add_u32 v98, v98, s52                           // ROWINC- Move cinRowPtr to next row
s_mul_i32 s52, s[sgprStrideD1J], 5                 // scale stride
_v_add_u32 v99, v99, s52                           // Move coutRowPtr to next row
v_cmp_lt_u32 s[52:53], v96, s[sgprSizeI]           // coord0 < size0
v_cmp_lt_u32 s[56:57], v97, s[sgprSizeJ]           // coord1 < size1
s_and_b64 s[56:57], s[52:53], s[56:57]             // in0 && in1
_v_add_lshl_u32 v227, v98, v96, 0x1                // scaleToBpe: accumulate d0 lower and *= bpe into Cin addr
v_cndmask_b32 v227, -1, v227, s[56:57]             // LDC clip if OOB. offset
_buffer_load_d16_b16 v228, v227, s[sgprSrdC:sgprSrdC+3], 0, offen offset:0,  glc slc // load C for beta calc
_v_add_lshl_u32 v227, v99, v96, 0x1                // scaleToBpe: accumulate d0 lower and *= bpe into Cin addr
v_cndmask_b32 v227, -1, v227, s[56:57]             // LDD clip if OOB. offset
/* (d1,vc1,d0,vc0)=(11,0,1,0) */
_v_add_co_u32 v100, vcc, v96, 64                   // coord0.1: coord0 += d0*sg0*VW + vc0
v_cmp_lt_u32 s[52:53], v100, s[sgprSizeI]          // coord0 < size0
v_cmp_lt_u32 s[56:57], v97, s[sgprSizeJ]           // coord1 < size1
s_and_b64 s[56:57], s[52:53], s[56:57]             // in0 && in1
_v_add_lshl_u32 v230, v98, v100, 0x1               // scaleToBpe: accumulate d0 lower and *= bpe into Cin addr
v_cndmask_b32 v230, -1, v230, s[56:57]             // LDC clip if OOB. offset
_buffer_load_d16_b16 v231, v230, s[sgprSrdC:sgprSrdC+3], 0, offen offset:0,  glc slc // load C for beta calc
_v_add_lshl_u32 v230, v99, v100, 0x1               // scaleToBpe: accumulate d0 lower and *= bpe into Cin addr
v_cndmask_b32 v230, -1, v230, s[56:57]             // LDD clip if OOB. offset
/* (d1,vc1,d0,vc0)=(11,1,0,0) */
_v_add_co_u32 v97, vcc, v97, 1                     // coord1.1: coord1Vgpr += d1*sg1*VW + vc1

/* Fix for UseInitialStridesCD, emitAddressSetupCode */
_v_add_u32 v98, v98, s[sgprStrideC1J]              // ROWINC- Move cinRowPtr to next row
_v_add_u32 v99, v99, s[sgprStrideD1J]              // Move coutRowPtr to next row
v_cmp_lt_u32 s[52:53], v96, s[sgprSizeI]           // coord0 < size0
v_cmp_lt_u32 s[56:57], v97, s[sgprSizeJ]           // coord1 < size1
s_and_b64 s[56:57], s[52:53], s[56:57]             // in0 && in1
_v_add_lshl_u32 v233, v98, v96, 0x1                // scaleToBpe: accumulate d0 lower and *= bpe into Cin addr
v_cndmask_b32 v233, -1, v233, s[56:57]             // LDC clip if OOB. offset
_buffer_load_d16_b16 v234, v233, s[sgprSrdC:sgprSrdC+3], 0, offen offset:0,  glc slc // load C for beta calc
_v_add_lshl_u32 v233, v99, v96, 0x1                // scaleToBpe: accumulate d0 lower and *= bpe into Cin addr
v_cndmask_b32 v233, -1, v233, s[56:57]             // LDD clip if OOB. offset
/* (d1,vc1,d0,vc0)=(11,1,1,0) */
_v_add_co_u32 v100, vcc, v96, 64                   // coord0.1: coord0 += d0*sg0*VW + vc0
v_cmp_lt_u32 s[52:53], v100, s[sgprSizeI]          // coord0 < size0
v_cmp_lt_u32 s[56:57], v97, s[sgprSizeJ]           // coord1 < size1
s_and_b64 s[56:57], s[52:53], s[56:57]             // in0 && in1
_v_add_lshl_u32 v236, v98, v100, 0x1               // scaleToBpe: accumulate d0 lower and *= bpe into Cin addr
v_cndmask_b32 v236, -1, v236, s[56:57]             // LDC clip if OOB. offset
_buffer_load_d16_b16 v237, v236, s[sgprSrdC:sgprSrdC+3], 0, offen offset:0,  glc slc // load C for beta calc
_v_add_lshl_u32 v236, v99, v100, 0x1               // scaleToBpe: accumulate d0 lower and *= bpe into Cin addr
v_cndmask_b32 v236, -1, v236, s[56:57]             // LDD clip if OOB. offset
/* (d1,vc1,d0,vc0)=(11,2,0,0) */
_v_add_co_u32 v97, vcc, v97, 1                     // coord1.1: coord1Vgpr += d1*sg1*VW + vc1

/* Fix for UseInitialStridesCD, emitAddressSetupCode */
_v_add_u32 v98, v98, s[sgprStrideC1J]              // ROWINC- Move cinRowPtr to next row
_v_add_u32 v99, v99, s[sgprStrideD1J]              // Move coutRowPtr to next row
	;; [unrolled: 24-line block ×3, first 2 shown]
v_cmp_lt_u32 s[52:53], v96, s[sgprSizeI]           // coord0 < size0
v_cmp_lt_u32 s[56:57], v97, s[sgprSizeJ]           // coord1 < size1
s_and_b64 s[56:57], s[52:53], s[56:57]             // in0 && in1
_v_add_lshl_u32 v245, v98, v96, 0x1                // scaleToBpe: accumulate d0 lower and *= bpe into Cin addr
v_cndmask_b32 v245, -1, v245, s[56:57]             // LDC clip if OOB. offset
_buffer_load_d16_b16 v246, v245, s[sgprSrdC:sgprSrdC+3], 0, offen offset:0,  glc slc // load C for beta calc
_v_add_lshl_u32 v245, v99, v96, 0x1                // scaleToBpe: accumulate d0 lower and *= bpe into Cin addr
v_cndmask_b32 v245, -1, v245, s[56:57]             // LDD clip if OOB. offset
/* (d1,vc1,d0,vc0)=(11,3,1,0) */
_v_add_co_u32 v100, vcc, v96, 64                   // coord0.1: coord0 += d0*sg0*VW + vc0
v_cmp_lt_u32 s[52:53], v100, s[sgprSizeI]          // coord0 < size0
v_cmp_lt_u32 s[56:57], v97, s[sgprSizeJ]           // coord1 < size1
s_and_b64 s[56:57], s[52:53], s[56:57]             // in0 && in1
_v_add_lshl_u32 v248, v98, v100, 0x1               // scaleToBpe: accumulate d0 lower and *= bpe into Cin addr
v_cndmask_b32 v248, -1, v248, s[56:57]             // LDC clip if OOB. offset
_buffer_load_d16_b16 v249, v248, s[sgprSrdC:sgprSrdC+3], 0, offen offset:0,  glc slc // load C for beta calc
_v_add_lshl_u32 v248, v99, v100, 0x1               // scaleToBpe: accumulate d0 lower and *= bpe into Cin addr
v_cndmask_b32 v248, -1, v248, s[56:57]             // LDD clip if OOB. offset

/* rC *= alpha batchElements=[(6, 0, 0, 0), (6, 1, 0, 0), (6, 0, 1, 0), (6, 1, 1, 0), (6, 0, 2, 0), (6, 1, 2, 0), (6, 0, 3, 0), (6, 1, 3, 0), (7, 0, 0, 0), (7, 1, 0, 0), (7, 0, 1, 0), (7, 1, 1, 0), (7, 0, 2, 0), (7, 1, 2, 0), (7, 0, 3, 0), (7, 1, 3, 0), (8, 0, 0, 0), (8, 1, 0, 0), (8, 0, 1, 0), (8, 1, 1, 0), (8, 0, 2, 0), (8, 1, 2, 0), (8, 0, 3, 0), (8, 1, 3, 0), (9, 0, 0, 0), (9, 1, 0, 0), (9, 0, 1, 0), (9, 1, 1, 0), (9, 0, 2, 0), (9, 1, 2, 0), (9, 0, 3, 0), (9, 1, 3, 0), (10, 0, 0, 0), (10, 1, 0, 0), (10, 0, 1, 0), (10, 1, 1, 0), (10, 0, 2, 0), (10, 1, 2, 0), (10, 0, 3, 0), (10, 1, 3, 0), (11, 0, 0, 0), (11, 1, 0, 0), (11, 0, 1, 0), (11, 1, 1, 0), (11, 0, 2, 0), (11, 1, 2, 0), (11, 0, 3, 0), (11, 1, 3, 0)] */
v_mul_f32 v[vgprValuC+104], s[sgprAlpha], v[vgprValuC+40] // Multiply MI out reg with alpha
v_mul_f32 v[vgprValuC+107], s[sgprAlpha], v[vgprValuC+56] // Multiply MI out reg with alpha
v_mul_f32 v[vgprValuC+110], s[sgprAlpha], v[vgprValuC+41] // Multiply MI out reg with alpha
v_mul_f32 v[vgprValuC+113], s[sgprAlpha], v[vgprValuC+57] // Multiply MI out reg with alpha
v_mul_f32 v[vgprValuC+116], s[sgprAlpha], v[vgprValuC+42] // Multiply MI out reg with alpha
v_mul_f32 v[vgprValuC+119], s[sgprAlpha], v[vgprValuC+58] // Multiply MI out reg with alpha
v_mul_f32 v[vgprValuC+122], s[sgprAlpha], v[vgprValuC+43] // Multiply MI out reg with alpha
v_mul_f32 v[vgprValuC+125], s[sgprAlpha], v[vgprValuC+59] // Multiply MI out reg with alpha
v_mul_f32 v[vgprValuC+128], s[sgprAlpha], v[vgprValuC+44] // Multiply MI out reg with alpha
v_mul_f32 v[vgprValuC+131], s[sgprAlpha], v[vgprValuC+60] // Multiply MI out reg with alpha
v_mul_f32 v[vgprValuC+134], s[sgprAlpha], v[vgprValuC+45] // Multiply MI out reg with alpha
v_mul_f32 v[vgprValuC+137], s[sgprAlpha], v[vgprValuC+61] // Multiply MI out reg with alpha
v_mul_f32 v[vgprValuC+140], s[sgprAlpha], v[vgprValuC+46] // Multiply MI out reg with alpha
v_mul_f32 v[vgprValuC+143], s[sgprAlpha], v[vgprValuC+62] // Multiply MI out reg with alpha
v_mul_f32 v[vgprValuC+151], s[sgprAlpha], v[vgprValuC+47] // Multiply MI out reg with alpha
v_mul_f32 v[vgprValuC+154], s[sgprAlpha], v[vgprValuC+63] // Multiply MI out reg with alpha
v_mul_f32 v[vgprValuC+157], s[sgprAlpha], v[vgprValuC+64] // Multiply MI out reg with alpha
v_mul_f32 v[vgprValuC+160], s[sgprAlpha], v[vgprValuC+80] // Multiply MI out reg with alpha
v_mul_f32 v[vgprValuC+163], s[sgprAlpha], v[vgprValuC+65] // Multiply MI out reg with alpha
v_mul_f32 v[vgprValuC+166], s[sgprAlpha], v[vgprValuC+81] // Multiply MI out reg with alpha
v_mul_f32 v[vgprValuC+169], s[sgprAlpha], v[vgprValuC+66] // Multiply MI out reg with alpha
v_mul_f32 v[vgprValuC+172], s[sgprAlpha], v[vgprValuC+82] // Multiply MI out reg with alpha
v_mul_f32 v[vgprValuC+175], s[sgprAlpha], v[vgprValuC+67] // Multiply MI out reg with alpha
v_mul_f32 v[vgprValuC+178], s[sgprAlpha], v[vgprValuC+83] // Multiply MI out reg with alpha
v_mul_f32 v[vgprValuC+181], s[sgprAlpha], v[vgprValuC+68] // Multiply MI out reg with alpha
v_mul_f32 v[vgprValuC+184], s[sgprAlpha], v[vgprValuC+84] // Multiply MI out reg with alpha
v_mul_f32 v[vgprValuC+187], s[sgprAlpha], v[vgprValuC+69] // Multiply MI out reg with alpha
v_mul_f32 v[vgprValuC+190], s[sgprAlpha], v[vgprValuC+85] // Multiply MI out reg with alpha
v_mul_f32 v[vgprValuC+193], s[sgprAlpha], v[vgprValuC+70] // Multiply MI out reg with alpha
v_mul_f32 v[vgprValuC+196], s[sgprAlpha], v[vgprValuC+86] // Multiply MI out reg with alpha
v_mul_f32 v[vgprValuC+199], s[sgprAlpha], v[vgprValuC+71] // Multiply MI out reg with alpha
v_mul_f32 v[vgprValuC+202], s[sgprAlpha], v[vgprValuC+87] // Multiply MI out reg with alpha
v_mul_f32 v[vgprValuC+205], s[sgprAlpha], v[vgprValuC+72] // Multiply MI out reg with alpha
v_mul_f32 v[vgprValuC+208], s[sgprAlpha], v[vgprValuC+88] // Multiply MI out reg with alpha
v_mul_f32 v[vgprValuC+211], s[sgprAlpha], v[vgprValuC+73] // Multiply MI out reg with alpha
v_mul_f32 v[vgprValuC+214], s[sgprAlpha], v[vgprValuC+89] // Multiply MI out reg with alpha
v_mul_f32 v[vgprValuC+217], s[sgprAlpha], v[vgprValuC+74] // Multiply MI out reg with alpha
v_mul_f32 v[vgprValuC+220], s[sgprAlpha], v[vgprValuC+90] // Multiply MI out reg with alpha
v_mul_f32 v[vgprValuC+223], s[sgprAlpha], v[vgprValuC+75] // Multiply MI out reg with alpha
v_mul_f32 v[vgprValuC+226], s[sgprAlpha], v[vgprValuC+91] // Multiply MI out reg with alpha
v_mul_f32 v[vgprValuC+229], s[sgprAlpha], v[vgprValuC+76] // Multiply MI out reg with alpha
v_mul_f32 v[vgprValuC+232], s[sgprAlpha], v[vgprValuC+92] // Multiply MI out reg with alpha
v_mul_f32 v[vgprValuC+235], s[sgprAlpha], v[vgprValuC+77] // Multiply MI out reg with alpha
v_mul_f32 v[vgprValuC+238], s[sgprAlpha], v[vgprValuC+93] // Multiply MI out reg with alpha
v_mul_f32 v[vgprValuC+241], s[sgprAlpha], v[vgprValuC+78] // Multiply MI out reg with alpha
v_mul_f32 v[vgprValuC+244], s[sgprAlpha], v[vgprValuC+94] // Multiply MI out reg with alpha
v_mul_f32 v[vgprValuC+247], s[sgprAlpha], v[vgprValuC+79] // Multiply MI out reg with alpha
v_mul_f32 v[vgprValuC+250], s[sgprAlpha], v[vgprValuC+95] // Multiply MI out reg with alpha
s_waitcnt vmcnt(0)                                 // wait C

/* apply mask, calc new C and issue writes */
v_fma_mix_f32 v[vgprValuC+104], s[sgprBeta], v103, v[vgprValuC+104], op_sel:[0,0,0] op_sel_hi:[0,1,0] // //C*=beta
v_cvt_f16_f32 v[vgprValuC+104], v[vgprValuC+104]   // convert C to fp16
_buffer_store_b16 v104, v102, s[sgprSrdD:sgprSrdD+3], 0, offen, offset:0,  glc slc // store D
v_fma_mix_f32 v[vgprValuC+107], s[sgprBeta], v106, v[vgprValuC+107], op_sel:[0,0,0] op_sel_hi:[0,1,0] // //C*=beta
v_cvt_f16_f32 v[vgprValuC+107], v[vgprValuC+107]   // convert C to fp16
_buffer_store_b16 v107, v105, s[sgprSrdD:sgprSrdD+3], 0, offen, offset:0,  glc slc // store D
	;; [unrolled: 3-line block ×48, first 2 shown]
s_nop 0                                            // 1 wait state required when next inst writes vgprs held by previous dwordx4 store inst
s_branch label_GW_End_284                          // jump to end
label_GW_End_284:

label_0289:  /// KernelEnd
s_endpgm                                           // Kernel End

